;; amdgpu-corpus repo=ROCm/rocFFT kind=compiled arch=gfx1030 opt=O3
	.text
	.amdgcn_target "amdgcn-amd-amdhsa--gfx1030"
	.amdhsa_code_object_version 6
	.protected	bluestein_single_back_len1859_dim1_dp_op_CI_CI ; -- Begin function bluestein_single_back_len1859_dim1_dp_op_CI_CI
	.globl	bluestein_single_back_len1859_dim1_dp_op_CI_CI
	.p2align	8
	.type	bluestein_single_back_len1859_dim1_dp_op_CI_CI,@function
bluestein_single_back_len1859_dim1_dp_op_CI_CI: ; @bluestein_single_back_len1859_dim1_dp_op_CI_CI
; %bb.0:
	s_load_dwordx4 s[0:3], s[4:5], 0x28
	v_mul_u32_u24_e32 v1, 0x184, v0
	v_mov_b32_e32 v149, 0
	v_lshrrev_b32_e32 v1, 16, v1
	v_add_nc_u32_e32 v148, s6, v1
	s_waitcnt lgkmcnt(0)
	v_cmp_gt_u64_e32 vcc_lo, s[0:1], v[148:149]
	s_and_saveexec_b32 s0, vcc_lo
	s_cbranch_execz .LBB0_23
; %bb.1:
	s_clause 0x1
	s_load_dwordx2 s[14:15], s[4:5], 0x0
	s_load_dwordx2 s[12:13], s[4:5], 0x38
	v_mul_lo_u16 v1, 0xa9, v1
	v_sub_nc_u16 v0, v0, v1
	v_and_b32_e32 v246, 0xffff, v0
	v_cmp_gt_u16_e32 vcc_lo, 0x8f, v0
	v_lshlrev_b32_e32 v245, 4, v246
	s_and_saveexec_b32 s1, vcc_lo
	s_cbranch_execz .LBB0_3
; %bb.2:
	s_load_dwordx2 s[6:7], s[4:5], 0x18
	s_waitcnt lgkmcnt(0)
	v_add_co_u32 v90, s0, s14, v245
	v_add_co_ci_u32_e64 v91, null, s15, 0, s0
	global_load_dwordx4 v[0:3], v245, s[14:15]
	v_add_co_u32 v4, s0, 0x800, v90
	v_add_co_ci_u32_e64 v5, s0, 0, v91, s0
	v_add_co_u32 v8, s0, 0x1000, v90
	v_add_co_ci_u32_e64 v9, s0, 0, v91, s0
	;; [unrolled: 2-line block ×3, first 2 shown]
	v_add_co_u32 v16, s0, 0x2000, v90
	s_load_dwordx4 s[8:11], s[6:7], 0x0
	v_add_co_ci_u32_e64 v17, s0, 0, v91, s0
	v_add_co_u32 v20, s0, 0x2800, v90
	v_add_co_ci_u32_e64 v21, s0, 0, v91, s0
	v_add_co_u32 v24, s0, 0x3000, v90
	;; [unrolled: 2-line block ×5, first 2 shown]
	s_waitcnt lgkmcnt(0)
	v_mad_u64_u32 v[22:23], null, s10, v148, 0
	v_mad_u64_u32 v[26:27], null, s8, v246, 0
	v_add_co_ci_u32_e64 v37, s0, 0, v91, s0
	v_add_co_u32 v84, s0, 0x5800, v90
	v_mov_b32_e32 v6, v23
	v_add_co_ci_u32_e64 v85, s0, 0, v91, s0
	v_mov_b32_e32 v7, v27
	s_mul_i32 s6, s9, 0x8f0
	s_mul_hi_u32 s7, s8, 0x8f0
	s_add_i32 s7, s7, s6
	v_mad_u64_u32 v[10:11], null, s11, v148, v[6:7]
	v_mad_u64_u32 v[30:31], null, s9, v246, v[7:8]
	global_load_dwordx4 v[4:7], v[4:5], off offset:240
	v_mov_b32_e32 v23, v10
	s_clause 0x2
	global_load_dwordx4 v[8:11], v[8:9], off offset:480
	global_load_dwordx4 v[12:15], v[12:13], off offset:720
	;; [unrolled: 1-line block ×3, first 2 shown]
	v_mov_b32_e32 v27, v30
	s_clause 0x1
	global_load_dwordx4 v[36:39], v[36:37], off offset:112
	global_load_dwordx4 v[32:35], v[32:33], off offset:1920
	v_lshlrev_b64 v[30:31], 4, v[22:23]
	global_load_dwordx4 v[20:23], v[20:21], off offset:1200
	v_lshlrev_b64 v[26:27], 4, v[26:27]
	v_add_co_u32 v30, s0, s2, v30
	v_add_co_ci_u32_e64 v31, s0, s3, v31, s0
	s_mul_i32 s2, s8, 0x8f0
	v_add_co_u32 v40, s0, v30, v26
	v_add_co_ci_u32_e64 v41, s0, v31, v27, s0
	global_load_dwordx4 v[24:27], v[24:25], off offset:1440
	v_add_co_u32 v44, s0, v40, s2
	v_add_co_ci_u32_e64 v45, s0, s7, v41, s0
	global_load_dwordx4 v[28:31], v[28:29], off offset:1680
	v_add_co_u32 v48, s0, v44, s2
	v_add_co_ci_u32_e64 v49, s0, s7, v45, s0
	s_clause 0x1
	global_load_dwordx4 v[40:43], v[40:41], off
	global_load_dwordx4 v[44:47], v[44:45], off
	v_add_co_u32 v52, s0, v48, s2
	v_add_co_ci_u32_e64 v53, s0, s7, v49, s0
	global_load_dwordx4 v[48:51], v[48:49], off
	v_add_co_u32 v56, s0, v52, s2
	v_add_co_ci_u32_e64 v57, s0, s7, v53, s0
	;; [unrolled: 3-line block ×5, first 2 shown]
	v_add_co_u32 v72, s0, v68, s2
	v_add_co_ci_u32_e64 v73, s0, s7, v69, s0
	v_add_co_u32 v76, s0, v72, s2
	v_add_co_ci_u32_e64 v77, s0, s7, v73, s0
	v_add_co_u32 v86, s0, v76, s2
	v_add_co_ci_u32_e64 v87, s0, s7, v77, s0
	global_load_dwordx4 v[64:67], v[64:65], off
	global_load_dwordx4 v[68:71], v[68:69], off
	;; [unrolled: 1-line block ×5, first 2 shown]
	v_add_co_u32 v88, s0, v86, s2
	v_add_co_ci_u32_e64 v89, s0, s7, v87, s0
	v_add_co_u32 v92, s0, 0x6000, v90
	v_add_co_ci_u32_e64 v93, s0, 0, v91, s0
	;; [unrolled: 2-line block ×4, first 2 shown]
	global_load_dwordx4 v[84:87], v[84:85], off offset:352
	global_load_dwordx4 v[88:91], v[88:89], off
	s_clause 0x1
	global_load_dwordx4 v[92:95], v[92:93], off offset:592
	global_load_dwordx4 v[96:99], v[96:97], off offset:832
	global_load_dwordx4 v[100:103], v[100:101], off
	s_waitcnt vmcnt(15)
	v_mul_f64 v[104:105], v[42:43], v[2:3]
	v_mul_f64 v[2:3], v[40:41], v[2:3]
	s_waitcnt vmcnt(14)
	v_mul_f64 v[106:107], v[46:47], v[6:7]
	v_mul_f64 v[6:7], v[44:45], v[6:7]
	;; [unrolled: 3-line block ×5, first 2 shown]
	v_fma_f64 v[40:41], v[40:41], v[0:1], v[104:105]
	s_waitcnt vmcnt(10)
	v_mul_f64 v[104:105], v[62:63], v[22:23]
	v_mul_f64 v[22:23], v[60:61], v[22:23]
	v_fma_f64 v[42:43], v[42:43], v[0:1], -v[2:3]
	v_fma_f64 v[0:1], v[44:45], v[4:5], v[106:107]
	v_fma_f64 v[2:3], v[46:47], v[4:5], -v[6:7]
	v_fma_f64 v[4:5], v[48:49], v[8:9], v[108:109]
	;; [unrolled: 2-line block ×3, first 2 shown]
	v_fma_f64 v[10:11], v[54:55], v[12:13], -v[14:15]
	s_waitcnt vmcnt(9)
	v_mul_f64 v[44:45], v[66:67], v[26:27]
	v_mul_f64 v[26:27], v[64:65], v[26:27]
	s_waitcnt vmcnt(8)
	v_mul_f64 v[46:47], v[70:71], v[30:31]
	v_mul_f64 v[30:31], v[68:69], v[30:31]
	;; [unrolled: 3-line block ×4, first 2 shown]
	v_fma_f64 v[12:13], v[56:57], v[16:17], v[112:113]
	v_fma_f64 v[14:15], v[58:59], v[16:17], -v[18:19]
	v_fma_f64 v[16:17], v[60:61], v[20:21], v[104:105]
	v_fma_f64 v[18:19], v[62:63], v[20:21], -v[22:23]
	s_waitcnt vmcnt(4)
	v_mul_f64 v[116:117], v[82:83], v[86:87]
	v_mul_f64 v[86:87], v[80:81], v[86:87]
	s_waitcnt vmcnt(2)
	v_mul_f64 v[118:119], v[90:91], v[94:95]
	v_mul_f64 v[94:95], v[88:89], v[94:95]
	s_waitcnt vmcnt(0)
	v_mul_f64 v[120:121], v[102:103], v[98:99]
	v_mul_f64 v[98:99], v[100:101], v[98:99]
	v_fma_f64 v[20:21], v[64:65], v[24:25], v[44:45]
	v_fma_f64 v[22:23], v[66:67], v[24:25], -v[26:27]
	v_fma_f64 v[24:25], v[68:69], v[28:29], v[46:47]
	v_fma_f64 v[26:27], v[70:71], v[28:29], -v[30:31]
	;; [unrolled: 2-line block ×7, first 2 shown]
	ds_write_b128 v245, v[40:43]
	ds_write_b128 v245, v[0:3] offset:2288
	ds_write_b128 v245, v[4:7] offset:4576
	;; [unrolled: 1-line block ×12, first 2 shown]
.LBB0_3:
	s_or_b32 exec_lo, exec_lo, s1
	s_clause 0x1
	s_load_dwordx2 s[2:3], s[4:5], 0x20
	s_load_dwordx2 s[0:1], s[4:5], 0x8
	s_waitcnt lgkmcnt(0)
	s_barrier
	buffer_gl0_inv
                                        ; implicit-def: $vgpr12_vgpr13
                                        ; implicit-def: $vgpr48_vgpr49
                                        ; implicit-def: $vgpr44_vgpr45
                                        ; implicit-def: $vgpr40_vgpr41
                                        ; implicit-def: $vgpr36_vgpr37
                                        ; implicit-def: $vgpr32_vgpr33
                                        ; implicit-def: $vgpr28_vgpr29
                                        ; implicit-def: $vgpr24_vgpr25
                                        ; implicit-def: $vgpr20_vgpr21
                                        ; implicit-def: $vgpr16_vgpr17
                                        ; implicit-def: $vgpr8_vgpr9
                                        ; implicit-def: $vgpr4_vgpr5
                                        ; implicit-def: $vgpr0_vgpr1
	s_and_saveexec_b32 s4, vcc_lo
	s_cbranch_execz .LBB0_5
; %bb.4:
	ds_read_b128 v[12:15], v245
	ds_read_b128 v[48:51], v245 offset:2288
	ds_read_b128 v[44:47], v245 offset:4576
	;; [unrolled: 1-line block ×12, first 2 shown]
.LBB0_5:
	s_or_b32 exec_lo, exec_lo, s4
	s_waitcnt lgkmcnt(0)
	v_add_f64 v[149:150], v[50:51], -v[2:3]
	v_add_f64 v[58:59], v[48:49], -v[0:1]
	s_mov_b32 s4, 0x4267c47c
	s_mov_b32 s6, 0x42a4c3d2
	;; [unrolled: 1-line block ×4, first 2 shown]
	v_add_f64 v[56:57], v[48:49], v[0:1]
	v_add_f64 v[151:152], v[50:51], v[2:3]
	v_add_f64 v[52:53], v[46:47], -v[6:7]
	v_add_f64 v[54:55], v[44:45], -v[4:5]
	s_mov_b32 s10, 0xe00740e9
	s_mov_b32 s8, 0x1ea71119
	;; [unrolled: 1-line block ×6, first 2 shown]
	v_add_f64 v[70:71], v[44:45], v[4:5]
	v_add_f64 v[142:143], v[46:47], v[6:7]
	v_add_f64 v[108:109], v[42:43], -v[10:11]
	v_add_f64 v[80:81], v[40:41], -v[8:9]
	s_mov_b32 s28, 0x66966769
	s_mov_b32 s24, 0xb2365da1
	v_mul_f64 v[60:61], v[149:150], s[4:5]
	v_mul_f64 v[62:63], v[58:59], s[4:5]
	;; [unrolled: 1-line block ×4, first 2 shown]
	s_mov_b32 s34, 0x4bc48dbf
	s_mov_b32 s29, 0xbfefc445
	;; [unrolled: 1-line block ×4, first 2 shown]
	v_mul_f64 v[76:77], v[52:53], s[6:7]
	v_mul_f64 v[86:87], v[54:55], s[6:7]
	;; [unrolled: 1-line block ×4, first 2 shown]
	v_add_f64 v[114:115], v[40:41], v[8:9]
	v_add_f64 v[146:147], v[42:43], v[10:11]
	v_add_f64 v[64:65], v[36:37], -v[16:17]
	v_add_f64 v[84:85], v[38:39], -v[18:19]
	s_mov_b32 s30, 0xebaa3ed8
	s_mov_b32 s16, 0x24c2f84
	v_mul_f64 v[82:83], v[108:109], s[28:29]
	v_mul_f64 v[102:103], v[80:81], s[28:29]
	v_mul_f64 v[124:125], v[108:109], s[34:35]
	v_mul_f64 v[132:133], v[80:81], s[34:35]
	v_fma_f64 v[66:67], v[56:57], s[10:11], v[60:61]
	v_fma_f64 v[68:69], v[151:152], s[10:11], -v[62:63]
	v_fma_f64 v[72:73], v[56:57], s[8:9], v[153:154]
	v_fma_f64 v[74:75], v[151:152], s[8:9], -v[155:156]
	s_mov_b32 s26, 0x93053d00
	s_mov_b32 s31, 0x3fbedb7d
	;; [unrolled: 1-line block ×4, first 2 shown]
	v_fma_f64 v[78:79], v[70:71], s[8:9], v[76:77]
	v_fma_f64 v[88:89], v[142:143], s[8:9], -v[86:87]
	v_fma_f64 v[90:91], v[70:71], s[24:25], v[122:123]
	v_fma_f64 v[92:93], v[142:143], s[24:25], -v[128:129]
	v_add_f64 v[134:135], v[38:39], v[18:19]
	v_add_f64 v[100:101], v[34:35], -v[22:23]
	v_mul_f64 v[98:99], v[64:65], s[18:19]
	v_mul_f64 v[96:97], v[84:85], s[18:19]
	;; [unrolled: 1-line block ×4, first 2 shown]
	v_fma_f64 v[112:113], v[114:115], s[30:31], v[82:83]
	v_fma_f64 v[120:121], v[146:147], s[30:31], -v[102:103]
	v_fma_f64 v[126:127], v[114:115], s[26:27], v[124:125]
	v_fma_f64 v[138:139], v[146:147], s[26:27], -v[132:133]
	v_add_f64 v[94:95], v[12:13], v[66:67]
	v_add_f64 v[68:69], v[14:15], v[68:69]
	;; [unrolled: 1-line block ×5, first 2 shown]
	v_add_f64 v[66:67], v[32:33], -v[20:21]
	s_mov_b32 s20, 0xd0032e0c
	s_mov_b32 s23, 0xbfe5384d
	;; [unrolled: 1-line block ×6, first 2 shown]
	v_add_f64 v[140:141], v[34:35], v[22:23]
	v_add_f64 v[116:117], v[30:31], -v[26:27]
	v_mul_f64 v[118:119], v[100:101], s[36:37]
	v_fma_f64 v[157:158], v[134:135], s[24:25], -v[98:99]
	s_mov_b32 s39, 0x3fddbe06
	v_fma_f64 v[161:162], v[134:135], s[20:21], -v[130:131]
	s_mov_b32 s38, s4
	v_add_f64 v[144:145], v[30:31], v[26:27]
	v_mul_lo_u16 v247, v246, 13
	v_add_f64 v[78:79], v[78:79], v[94:95]
	v_add_f64 v[88:89], v[88:89], v[68:69]
	v_add_f64 v[90:91], v[90:91], v[106:107]
	v_add_f64 v[92:93], v[92:93], v[74:75]
	v_add_f64 v[74:75], v[32:33], v[20:21]
	v_add_f64 v[68:69], v[28:29], -v[24:25]
	v_mul_f64 v[106:107], v[100:101], s[22:23]
	v_mul_f64 v[110:111], v[66:67], s[22:23]
	;; [unrolled: 1-line block ×3, first 2 shown]
	v_fma_f64 v[94:95], v[72:73], s[24:25], v[96:97]
	v_fma_f64 v[159:160], v[72:73], s[20:21], v[104:105]
	s_barrier
	buffer_gl0_inv
	v_add_f64 v[163:164], v[112:113], v[78:79]
	v_add_f64 v[88:89], v[120:121], v[88:89]
	v_add_f64 v[90:91], v[126:127], v[90:91]
	v_add_f64 v[92:93], v[138:139], v[92:93]
	v_add_f64 v[78:79], v[28:29], v[24:25]
	v_mul_f64 v[112:113], v[116:117], s[34:35]
	v_mul_f64 v[120:121], v[68:69], s[34:35]
	v_mul_f64 v[126:127], v[116:117], s[38:39]
	v_mul_f64 v[138:139], v[68:69], s[38:39]
	v_fma_f64 v[165:166], v[74:75], s[20:21], v[106:107]
	v_fma_f64 v[167:168], v[140:141], s[20:21], -v[110:111]
	v_fma_f64 v[169:170], v[74:75], s[30:31], v[118:119]
	v_fma_f64 v[171:172], v[140:141], s[30:31], -v[136:137]
	v_add_f64 v[94:95], v[94:95], v[163:164]
	v_add_f64 v[88:89], v[157:158], v[88:89]
	;; [unrolled: 1-line block ×4, first 2 shown]
	v_fma_f64 v[157:158], v[78:79], s[26:27], v[112:113]
	v_fma_f64 v[159:160], v[144:145], s[26:27], -v[120:121]
	v_fma_f64 v[161:162], v[78:79], s[10:11], v[126:127]
	v_fma_f64 v[163:164], v[144:145], s[10:11], -v[138:139]
	v_add_f64 v[94:95], v[165:166], v[94:95]
	v_add_f64 v[88:89], v[167:168], v[88:89]
	;; [unrolled: 1-line block ×8, first 2 shown]
	s_and_saveexec_b32 s33, vcc_lo
	s_cbranch_execz .LBB0_7
; %bb.6:
	v_add_f64 v[50:51], v[14:15], v[50:51]
	v_add_f64 v[48:49], v[12:13], v[48:49]
	v_mul_f64 v[157:158], v[151:152], s[26:27]
	s_mov_b32 s41, 0x3fcea1e5
	s_mov_b32 s40, s34
	v_mul_f64 v[169:170], v[142:143], s[10:11]
	v_mul_f64 v[167:168], v[149:150], s[34:35]
	;; [unrolled: 1-line block ×13, first 2 shown]
	s_mov_b32 s43, 0x3fedeba7
	s_mov_b32 s42, s18
	v_mul_f64 v[183:184], v[108:109], s[22:23]
	v_mul_f64 v[159:160], v[56:57], s[10:11]
	v_add_f64 v[46:47], v[50:51], v[46:47]
	v_add_f64 v[44:45], v[48:49], v[44:45]
	v_fma_f64 v[48:49], v[58:59], s[40:41], v[157:158]
	v_fma_f64 v[157:158], v[58:59], s[34:35], v[157:158]
	v_mul_f64 v[50:51], v[151:152], s[30:31]
	v_fma_f64 v[203:204], v[54:55], s[4:5], v[169:170]
	v_mul_f64 v[151:152], v[52:53], s[38:39]
	v_fma_f64 v[201:202], v[56:57], s[26:27], v[167:168]
	v_fma_f64 v[167:168], v[56:57], s[26:27], -v[167:168]
	v_fma_f64 v[205:206], v[58:59], s[16:17], v[173:174]
	v_fma_f64 v[207:208], v[56:57], s[20:21], v[175:176]
	;; [unrolled: 1-line block ×5, first 2 shown]
	v_mul_f64 v[163:164], v[56:57], s[8:9]
	v_mul_f64 v[189:190], v[108:109], s[6:7]
	v_fma_f64 v[177:178], v[80:81], s[22:23], v[177:178]
	v_fma_f64 v[223:224], v[70:71], s[30:31], v[191:192]
	;; [unrolled: 1-line block ×3, first 2 shown]
	s_mov_b32 s45, 0x3fea55e2
	s_mov_b32 s44, s6
	v_mul_f64 v[193:194], v[142:143], s[20:21]
	v_add_f64 v[42:43], v[46:47], v[42:43]
	v_add_f64 v[40:41], v[44:45], v[40:41]
	;; [unrolled: 1-line block ×4, first 2 shown]
	v_mul_f64 v[215:216], v[84:85], s[44:45]
	v_fma_f64 v[221:222], v[54:55], s[28:29], v[187:188]
	v_fma_f64 v[219:220], v[70:71], s[10:11], v[151:152]
	v_fma_f64 v[151:152], v[70:71], s[10:11], -v[151:152]
	v_add_f64 v[167:168], v[12:13], v[167:168]
	v_add_f64 v[201:202], v[12:13], v[201:202]
	v_add_f64 v[207:208], v[12:13], v[207:208]
	v_add_f64 v[205:206], v[14:15], v[205:206]
	v_fma_f64 v[227:228], v[114:115], s[20:21], v[183:184]
	v_fma_f64 v[183:184], v[114:115], s[20:21], -v[183:184]
	v_mul_f64 v[185:186], v[146:147], s[8:9]
	v_mul_f64 v[195:196], v[140:141], s[24:25]
	;; [unrolled: 1-line block ×4, first 2 shown]
	v_fma_f64 v[231:232], v[114:115], s[8:9], v[189:190]
	v_fma_f64 v[171:172], v[64:65], s[44:45], v[171:172]
	v_mul_f64 v[199:200], v[100:101], s[18:19]
	v_mul_f64 v[197:198], v[134:135], s[26:27]
	v_add_f64 v[38:39], v[42:43], v[38:39]
	v_add_f64 v[36:37], v[40:41], v[36:37]
	;; [unrolled: 1-line block ×3, first 2 shown]
	v_fma_f64 v[42:43], v[56:57], s[20:21], -v[175:176]
	v_fma_f64 v[44:45], v[58:59], s[42:43], v[179:180]
	v_fma_f64 v[175:176], v[56:57], s[24:25], v[181:182]
	;; [unrolled: 1-line block ×3, first 2 shown]
	v_fma_f64 v[181:182], v[56:57], s[24:25], -v[181:182]
	v_fma_f64 v[203:204], v[58:59], s[36:37], v[50:51]
	v_fma_f64 v[50:51], v[58:59], s[28:29], v[50:51]
	;; [unrolled: 1-line block ×3, first 2 shown]
	v_add_f64 v[157:158], v[169:170], v[157:158]
	v_fma_f64 v[56:57], v[56:57], s[30:31], -v[149:150]
	v_fma_f64 v[149:150], v[70:71], s[30:31], -v[191:192]
	v_add_f64 v[151:152], v[151:152], v[167:168]
	v_add_f64 v[201:202], v[219:220], v[201:202]
	;; [unrolled: 1-line block ×4, first 2 shown]
	v_fma_f64 v[205:206], v[72:73], s[8:9], -v[215:216]
	v_mul_f64 v[46:47], v[146:147], s[10:11]
	v_mul_f64 v[213:214], v[108:109], s[38:39]
	v_fma_f64 v[229:230], v[80:81], s[44:45], v[185:186]
	v_add_f64 v[34:35], v[38:39], v[34:35]
	v_add_f64 v[32:33], v[36:37], v[32:33]
	;; [unrolled: 1-line block ×3, first 2 shown]
	v_fma_f64 v[38:39], v[54:55], s[36:37], v[187:188]
	v_add_f64 v[40:41], v[14:15], v[173:174]
	v_add_f64 v[42:43], v[12:13], v[42:43]
	;; [unrolled: 1-line block ×3, first 2 shown]
	v_fma_f64 v[165:166], v[54:55], s[22:23], v[193:194]
	v_fma_f64 v[187:188], v[66:67], s[42:43], v[195:196]
	;; [unrolled: 1-line block ×4, first 2 shown]
	v_add_f64 v[157:158], v[177:178], v[157:158]
	v_add_f64 v[44:45], v[14:15], v[44:45]
	;; [unrolled: 1-line block ×6, first 2 shown]
	v_fma_f64 v[161:162], v[70:71], s[20:21], v[48:49]
	v_add_f64 v[175:176], v[12:13], v[175:176]
	v_mul_f64 v[209:210], v[70:71], s[8:9]
	v_mul_f64 v[211:212], v[134:135], s[30:31]
	v_fma_f64 v[173:174], v[64:65], s[34:35], v[197:198]
	v_add_f64 v[30:31], v[34:35], v[30:31]
	v_add_f64 v[28:29], v[32:33], v[28:29]
	;; [unrolled: 1-line block ×3, first 2 shown]
	v_fma_f64 v[34:35], v[80:81], s[6:7], v[185:186]
	v_add_f64 v[36:37], v[38:39], v[40:41]
	v_fma_f64 v[40:41], v[114:115], s[8:9], -v[189:190]
	v_add_f64 v[42:43], v[149:150], v[42:43]
	v_add_f64 v[38:39], v[163:164], -v[153:154]
	v_fma_f64 v[163:164], v[54:55], s[16:17], v[193:194]
	v_add_f64 v[167:168], v[229:230], v[167:168]
	v_add_f64 v[60:61], v[159:160], -v[60:61]
	v_add_f64 v[157:158], v[171:172], v[157:158]
	v_fma_f64 v[171:172], v[72:73], s[26:27], -v[217:218]
	v_fma_f64 v[149:150], v[74:75], s[24:25], v[199:200]
	v_add_f64 v[151:152], v[205:206], v[151:152]
	v_fma_f64 v[159:160], v[80:81], s[4:5], v[46:47]
	v_add_f64 v[44:45], v[165:166], v[44:45]
	v_add_f64 v[165:166], v[191:192], v[201:202]
	;; [unrolled: 1-line block ×4, first 2 shown]
	v_fma_f64 v[175:176], v[114:115], s[10:11], v[213:214]
	v_fma_f64 v[46:47], v[80:81], s[38:39], v[46:47]
	v_add_f64 v[26:27], v[30:31], v[26:27]
	v_add_f64 v[24:25], v[28:29], v[24:25]
	;; [unrolled: 1-line block ×3, first 2 shown]
	v_fma_f64 v[179:180], v[74:75], s[24:25], -v[199:200]
	v_add_f64 v[28:29], v[187:188], v[32:33]
	v_add_f64 v[32:33], v[34:35], v[36:37]
	;; [unrolled: 1-line block ×3, first 2 shown]
	v_mul_f64 v[42:43], v[100:101], s[38:39]
	v_mul_f64 v[34:35], v[140:141], s[10:11]
	v_fma_f64 v[36:37], v[64:65], s[40:41], v[197:198]
	v_mul_f64 v[52:53], v[52:53], s[34:35]
	v_add_f64 v[155:156], v[14:15], v[155:156]
	v_fma_f64 v[153:154], v[66:67], s[18:19], v[195:196]
	v_add_f64 v[167:168], v[173:174], v[167:168]
	v_add_f64 v[173:174], v[12:13], v[181:182]
	;; [unrolled: 1-line block ×12, first 2 shown]
	v_mul_f64 v[163:164], v[142:143], s[8:9]
	v_mul_f64 v[24:25], v[142:143], s[26:27]
	;; [unrolled: 1-line block ×3, first 2 shown]
	v_add_f64 v[40:41], v[171:172], v[40:41]
	v_fma_f64 v[171:172], v[74:75], s[10:11], v[42:43]
	v_mul_f64 v[26:27], v[70:71], s[24:25]
	v_add_f64 v[151:152], v[179:180], v[151:152]
	v_mul_f64 v[179:180], v[146:147], s[26:27]
	v_mul_f64 v[60:61], v[140:141], s[26:27]
	v_fma_f64 v[62:63], v[64:65], s[36:37], v[211:212]
	v_add_f64 v[44:45], v[159:160], v[44:45]
	v_mul_f64 v[159:160], v[84:85], s[28:29]
	v_add_f64 v[32:33], v[36:37], v[32:33]
	v_fma_f64 v[36:37], v[66:67], s[4:5], v[34:35]
	v_fma_f64 v[34:35], v[66:67], s[38:39], v[34:35]
	v_add_f64 v[149:150], v[149:150], v[165:166]
	v_mul_f64 v[165:166], v[114:115], s[30:31]
	v_add_f64 v[161:162], v[175:176], v[161:162]
	v_mul_f64 v[175:176], v[146:147], s[30:31]
	v_mul_f64 v[146:147], v[146:147], s[24:25]
	v_add_f64 v[76:77], v[209:210], -v[76:77]
	v_fma_f64 v[42:43], v[74:75], s[10:11], -v[42:43]
	v_add_f64 v[86:87], v[86:87], v[163:164]
	v_add_f64 v[30:31], v[46:47], v[30:31]
	;; [unrolled: 1-line block ×3, first 2 shown]
	v_mul_f64 v[46:47], v[114:115], s[26:27]
	v_add_f64 v[169:170], v[171:172], v[169:170]
	v_fma_f64 v[171:172], v[54:55], s[40:41], v[24:25]
	v_fma_f64 v[24:25], v[54:55], s[34:35], v[24:25]
	v_add_f64 v[26:27], v[26:27], -v[122:123]
	v_mul_f64 v[108:109], v[108:109], s[42:43]
	v_fma_f64 v[185:186], v[70:71], s[26:27], v[52:53]
	v_fma_f64 v[52:53], v[70:71], s[26:27], -v[52:53]
	v_fma_f64 v[48:49], v[70:71], s[20:21], -v[48:49]
	v_mul_f64 v[54:55], v[134:135], s[20:21]
	v_add_f64 v[132:133], v[132:133], v[179:180]
	v_add_f64 v[153:154], v[153:154], v[157:158]
	v_fma_f64 v[157:158], v[66:67], s[34:35], v[60:61]
	v_add_f64 v[44:45], v[62:63], v[44:45]
	v_fma_f64 v[62:63], v[72:73], s[30:31], v[159:160]
	v_add_f64 v[36:37], v[36:37], v[167:168]
	v_mul_f64 v[167:168], v[72:73], s[24:25]
	v_add_f64 v[32:33], v[34:35], v[32:33]
	v_mul_f64 v[34:35], v[134:135], s[24:25]
	;; [unrolled: 2-line block ×3, first 2 shown]
	v_add_f64 v[128:129], v[128:129], v[155:156]
	v_add_f64 v[14:15], v[86:87], v[14:15]
	v_add_f64 v[82:83], v[165:166], -v[82:83]
	v_add_f64 v[171:172], v[171:172], v[177:178]
	v_fma_f64 v[177:178], v[80:81], s[18:19], v[146:147]
	v_fma_f64 v[80:81], v[80:81], s[42:43], v[146:147]
	v_add_f64 v[24:25], v[24:25], v[50:51]
	v_add_f64 v[12:13], v[76:77], v[12:13]
	v_fma_f64 v[181:182], v[64:65], s[28:29], v[211:212]
	v_add_f64 v[40:41], v[42:43], v[40:41]
	v_mul_f64 v[42:43], v[72:73], s[20:21]
	v_add_f64 v[46:47], v[46:47], -v[124:125]
	v_add_f64 v[26:27], v[26:27], v[38:39]
	v_fma_f64 v[50:51], v[114:115], s[24:25], v[108:109]
	v_fma_f64 v[108:109], v[114:115], s[24:25], -v[108:109]
	v_mul_f64 v[84:85], v[84:85], s[38:39]
	v_add_f64 v[52:53], v[52:53], v[56:57]
	v_add_f64 v[48:49], v[48:49], v[173:174]
	v_fma_f64 v[183:184], v[114:115], s[10:11], -v[213:214]
	v_add_f64 v[58:59], v[185:186], v[58:59]
	v_mul_f64 v[142:143], v[140:141], s[30:31]
	v_add_f64 v[54:55], v[130:131], v[54:55]
	v_add_f64 v[128:129], v[132:133], v[128:129]
	;; [unrolled: 1-line block ×5, first 2 shown]
	v_mul_f64 v[157:158], v[74:75], s[20:21]
	v_add_f64 v[62:63], v[62:63], v[161:162]
	v_mul_f64 v[161:162], v[140:141], s[20:21]
	v_add_f64 v[24:25], v[80:81], v[24:25]
	v_mul_f64 v[140:141], v[140:141], s[8:9]
	v_fma_f64 v[130:131], v[64:65], s[38:39], v[134:135]
	v_add_f64 v[34:35], v[98:99], v[34:35]
	v_add_f64 v[14:15], v[102:103], v[14:15]
	v_add_f64 v[96:97], v[167:168], -v[96:97]
	v_add_f64 v[12:13], v[82:83], v[12:13]
	v_add_f64 v[30:31], v[181:182], v[30:31]
	v_mul_f64 v[181:182], v[74:75], s[30:31]
	v_add_f64 v[42:43], v[42:43], -v[104:105]
	v_add_f64 v[20:21], v[46:47], v[26:27]
	v_mul_f64 v[124:125], v[100:101], s[40:41]
	v_mul_f64 v[100:101], v[100:101], s[6:7]
	v_fma_f64 v[132:133], v[72:73], s[10:11], -v[84:85]
	v_add_f64 v[22:23], v[108:109], v[52:53]
	v_fma_f64 v[159:160], v[72:73], s[30:31], -v[159:160]
	v_add_f64 v[26:27], v[183:184], v[48:49]
	v_fma_f64 v[60:61], v[66:67], s[40:41], v[60:61]
	v_fma_f64 v[52:53], v[64:65], s[4:5], v[134:135]
	v_add_f64 v[64:65], v[177:178], v[171:172]
	v_fma_f64 v[72:73], v[72:73], s[10:11], v[84:85]
	v_add_f64 v[50:51], v[50:51], v[58:59]
	v_add_f64 v[98:99], v[136:137], v[142:143]
	;; [unrolled: 1-line block ×5, first 2 shown]
	v_mul_f64 v[173:174], v[78:79], s[26:27]
	v_mul_f64 v[163:164], v[144:145], s[24:25]
	;; [unrolled: 1-line block ×3, first 2 shown]
	v_fma_f64 v[82:83], v[66:67], s[6:7], v[140:141]
	v_add_f64 v[24:25], v[130:131], v[24:25]
	v_add_f64 v[104:105], v[110:111], v[161:162]
	;; [unrolled: 1-line block ×3, first 2 shown]
	v_add_f64 v[34:35], v[157:158], -v[106:107]
	v_add_f64 v[12:13], v[96:97], v[12:13]
	v_mul_f64 v[122:123], v[144:145], s[30:31]
	v_mul_f64 v[155:156], v[78:79], s[10:11]
	;; [unrolled: 1-line block ×3, first 2 shown]
	v_add_f64 v[102:103], v[181:182], -v[118:119]
	v_add_f64 v[16:17], v[42:43], v[20:21]
	v_mul_f64 v[179:180], v[144:145], s[8:9]
	v_mul_f64 v[48:49], v[144:145], s[20:21]
	v_mul_f64 v[58:59], v[116:117], s[22:23]
	v_fma_f64 v[84:85], v[74:75], s[8:9], -v[100:101]
	v_add_f64 v[18:19], v[132:133], v[22:23]
	v_mul_f64 v[185:186], v[116:117], s[44:45]
	v_fma_f64 v[46:47], v[74:75], s[26:27], -v[124:125]
	v_add_f64 v[20:21], v[159:160], v[26:27]
	v_mul_f64 v[114:115], v[116:117], s[18:19]
	v_mul_f64 v[146:147], v[116:117], s[36:37]
	v_fma_f64 v[80:81], v[74:75], s[26:27], v[124:125]
	v_add_f64 v[26:27], v[60:61], v[30:31]
	v_fma_f64 v[30:31], v[66:67], s[44:45], v[140:141]
	v_add_f64 v[42:43], v[52:53], v[64:65]
	;; [unrolled: 2-line block ×3, first 2 shown]
	v_add_f64 v[54:55], v[98:99], v[54:55]
	v_add_f64 v[96:97], v[10:11], v[6:7]
	;; [unrolled: 1-line block ×3, first 2 shown]
	v_fma_f64 v[165:166], v[68:69], s[42:43], v[163:164]
	v_fma_f64 v[163:164], v[68:69], s[18:19], v[163:164]
	v_add_f64 v[24:25], v[82:83], v[24:25]
	v_add_f64 v[70:71], v[120:121], v[70:71]
	;; [unrolled: 1-line block ×3, first 2 shown]
	v_add_f64 v[82:83], v[173:174], -v[112:113]
	v_add_f64 v[12:13], v[34:35], v[12:13]
	v_fma_f64 v[175:176], v[68:69], s[28:29], v[122:123]
	v_add_f64 v[38:39], v[138:139], v[38:39]
	v_add_f64 v[72:73], v[155:156], -v[126:127]
	v_add_f64 v[16:17], v[102:103], v[16:17]
	v_fma_f64 v[22:23], v[68:69], s[44:45], v[179:180]
	v_fma_f64 v[64:65], v[68:69], s[22:23], v[48:49]
	v_fma_f64 v[66:67], v[78:79], s[20:21], -v[58:59]
	v_add_f64 v[84:85], v[84:85], v[18:19]
	v_fma_f64 v[60:61], v[78:79], s[8:9], -v[185:186]
	v_add_f64 v[20:21], v[46:47], v[20:21]
	v_fma_f64 v[76:77], v[78:79], s[24:25], v[114:115]
	v_fma_f64 v[114:115], v[78:79], s[24:25], -v[114:115]
	v_fma_f64 v[86:87], v[78:79], s[30:31], v[146:147]
	v_fma_f64 v[122:123], v[68:69], s[36:37], v[122:123]
	v_fma_f64 v[146:147], v[78:79], s[30:31], -v[146:147]
	v_fma_f64 v[56:57], v[68:69], s[6:7], v[179:180]
	v_fma_f64 v[46:47], v[78:79], s[8:9], v[185:186]
	v_add_f64 v[62:63], v[80:81], v[62:63]
	v_fma_f64 v[48:49], v[68:69], s[16:17], v[48:49]
	v_add_f64 v[42:43], v[30:31], v[42:43]
	;; [unrolled: 2-line block ×3, first 2 shown]
	v_add_f64 v[2:3], v[96:97], v[2:3]
	v_add_f64 v[0:1], v[98:99], v[0:1]
	;; [unrolled: 1-line block ×22, first 2 shown]
	v_mov_b32_e32 v44, 4
	v_lshlrev_b32_sdwa v44, v44, v247 dst_sel:DWORD dst_unused:UNUSED_PAD src0_sel:DWORD src1_sel:WORD_0
	ds_write_b128 v44, v[0:3]
	ds_write_b128 v44, v[32:35] offset:16
	ds_write_b128 v44, v[28:31] offset:32
	;; [unrolled: 1-line block ×12, first 2 shown]
.LBB0_7:
	s_or_b32 exec_lo, exec_lo, s33
	v_and_b32_e32 v0, 0xff, v246
	s_load_dwordx4 s[4:7], s[2:3], 0x0
	s_waitcnt lgkmcnt(0)
	s_barrier
	buffer_gl0_inv
	v_mul_lo_u16 v0, 0x4f, v0
	s_mov_b32 s21, 0xbfed1bb4
	s_mov_b32 s20, 0x8eee2c13
	;; [unrolled: 1-line block ×4, first 2 shown]
	v_lshrrev_b16 v146, 10, v0
	s_mov_b32 s18, 0x43842ef
	s_mov_b32 s22, 0xbb3a28a1
	;; [unrolled: 1-line block ×4, first 2 shown]
	v_mul_lo_u16 v0, v146, 13
	s_mov_b32 s9, 0x3fda9628
	s_mov_b32 s19, 0xbfefac9e
	;; [unrolled: 1-line block ×4, first 2 shown]
	v_sub_nc_u16 v0, v246, v0
	s_mov_b32 s10, 0x8764f0ba
	s_mov_b32 s2, 0x640f44db
	;; [unrolled: 1-line block ×4, first 2 shown]
	v_and_b32_e32 v147, 0xff, v0
	s_mov_b32 s11, 0x3feaeb8c
	s_mov_b32 s3, 0xbfc2375f
	;; [unrolled: 1-line block ×4, first 2 shown]
	v_mul_u32_u24_e32 v0, 10, v147
	s_mov_b32 s37, 0x3fd207e7
	s_mov_b32 s36, s28
	;; [unrolled: 1-line block ×4, first 2 shown]
	v_lshlrev_b32_e32 v76, 4, v0
	s_mov_b32 s31, 0x3fe14ced
	s_mov_b32 s30, s26
	s_clause 0x7
	global_load_dwordx4 v[28:31], v76, s[0:1]
	global_load_dwordx4 v[16:19], v76, s[0:1] offset:16
	global_load_dwordx4 v[4:7], v76, s[0:1] offset:32
	;; [unrolled: 1-line block ×7, first 2 shown]
	ds_read_b128 v[32:35], v245 offset:2704
	ds_read_b128 v[36:39], v245 offset:5408
	;; [unrolled: 1-line block ×3, first 2 shown]
	ds_read_b128 v[104:107], v245
	ds_read_b128 v[48:51], v245 offset:10816
	ds_read_b128 v[52:55], v245 offset:13520
	s_waitcnt vmcnt(7) lgkmcnt(5)
	v_mul_f64 v[40:41], v[34:35], v[30:31]
	v_mul_f64 v[42:43], v[32:33], v[30:31]
	s_waitcnt vmcnt(6) lgkmcnt(4)
	v_mul_f64 v[56:57], v[38:39], v[18:19]
	v_mul_f64 v[58:59], v[36:37], v[18:19]
	;; [unrolled: 3-line block ×5, first 2 shown]
	v_fma_f64 v[72:73], v[32:33], v[28:29], -v[40:41]
	v_fma_f64 v[74:75], v[34:35], v[28:29], v[42:43]
	ds_read_b128 v[32:35], v245 offset:16224
	v_fma_f64 v[40:41], v[36:37], v[16:17], -v[56:57]
	v_fma_f64 v[42:43], v[38:39], v[16:17], v[58:59]
	ds_read_b128 v[36:39], v245 offset:18928
	v_fma_f64 v[56:57], v[44:45], v[4:5], -v[60:61]
	v_fma_f64 v[58:59], v[46:47], v[4:5], v[62:63]
	v_fma_f64 v[64:65], v[48:49], v[0:1], -v[64:65]
	v_fma_f64 v[70:71], v[54:55], v[12:13], v[70:71]
	v_fma_f64 v[66:67], v[50:51], v[0:1], v[66:67]
	v_fma_f64 v[68:69], v[52:53], v[12:13], -v[68:69]
	s_waitcnt vmcnt(2) lgkmcnt(1)
	v_mul_f64 v[44:45], v[34:35], v[10:11]
	v_mul_f64 v[46:47], v[32:33], v[10:11]
	v_add_f64 v[124:125], v[104:105], v[72:73]
	s_waitcnt vmcnt(1) lgkmcnt(0)
	v_mul_f64 v[48:49], v[38:39], v[22:23]
	v_add_f64 v[126:127], v[106:107], v[74:75]
	v_fma_f64 v[96:97], v[32:33], v[8:9], -v[44:45]
	v_mul_f64 v[32:33], v[36:37], v[22:23]
	v_fma_f64 v[98:99], v[34:35], v[8:9], v[46:47]
	v_fma_f64 v[108:109], v[36:37], v[20:21], -v[48:49]
	v_add_f64 v[169:170], v[68:69], v[96:97]
	v_fma_f64 v[110:111], v[38:39], v[20:21], v[32:33]
	ds_read_b128 v[32:35], v245 offset:21632
	ds_read_b128 v[44:47], v245 offset:24336
	v_add_f64 v[157:158], v[64:65], v[108:109]
	v_add_f64 v[175:176], v[70:71], v[98:99]
	s_waitcnt vmcnt(0) lgkmcnt(1)
	v_mul_f64 v[36:37], v[34:35], v[26:27]
	v_add_f64 v[163:164], v[66:67], v[110:111]
	v_fma_f64 v[112:113], v[32:33], v[24:25], -v[36:37]
	v_mul_f64 v[32:33], v[32:33], v[26:27]
	v_add_f64 v[151:152], v[56:57], -v[112:113]
	v_fma_f64 v[114:115], v[34:35], v[24:25], v[32:33]
	s_clause 0x1
	global_load_dwordx4 v[32:35], v76, s[0:1] offset:128
	global_load_dwordx4 v[36:39], v76, s[0:1] offset:144
	v_mul_f64 v[153:154], v[151:152], s[18:19]
	s_waitcnt vmcnt(1) lgkmcnt(0)
	v_mul_f64 v[48:49], v[46:47], v[34:35]
	v_fma_f64 v[116:117], v[44:45], v[32:33], -v[48:49]
	v_mul_f64 v[44:45], v[44:45], v[34:35]
	v_fma_f64 v[118:119], v[46:47], v[32:33], v[44:45]
	ds_read_b128 v[44:47], v245 offset:27040
	s_waitcnt vmcnt(0) lgkmcnt(0)
	s_barrier
	buffer_gl0_inv
	v_mul_f64 v[48:49], v[44:45], v[38:39]
	v_fma_f64 v[120:121], v[46:47], v[36:37], v[48:49]
	v_mul_f64 v[46:47], v[46:47], v[38:39]
	v_add_f64 v[82:83], v[74:75], v[120:121]
	v_fma_f64 v[122:123], v[44:45], v[36:37], -v[46:47]
	v_add_f64 v[44:45], v[74:75], -v[120:121]
	v_add_f64 v[54:55], v[72:73], v[122:123]
	v_mul_f64 v[48:49], v[44:45], s[20:21]
	v_mul_f64 v[46:47], v[44:45], s[26:27]
	;; [unrolled: 1-line block ×5, first 2 shown]
	v_fma_f64 v[62:63], v[54:55], s[8:9], -v[48:49]
	v_fma_f64 v[76:77], v[54:55], s[8:9], v[48:49]
	v_add_f64 v[48:49], v[72:73], -v[122:123]
	v_fma_f64 v[60:61], v[54:55], s[10:11], -v[46:47]
	v_fma_f64 v[46:47], v[54:55], s[10:11], v[46:47]
	v_fma_f64 v[78:79], v[54:55], s[2:3], -v[50:51]
	v_fma_f64 v[100:101], v[54:55], s[2:3], v[50:51]
	;; [unrolled: 2-line block ×4, first 2 shown]
	v_mul_f64 v[50:51], v[48:49], s[26:27]
	v_mul_f64 v[52:53], v[48:49], s[20:21]
	;; [unrolled: 1-line block ×5, first 2 shown]
	v_add_f64 v[144:145], v[104:105], v[60:61]
	v_add_f64 v[74:75], v[104:105], v[130:131]
	v_add_f64 v[130:131], v[42:43], v[118:119]
	v_fma_f64 v[84:85], v[82:83], s[10:11], v[50:51]
	v_fma_f64 v[50:51], v[82:83], s[10:11], -v[50:51]
	v_fma_f64 v[86:87], v[82:83], s[8:9], v[52:53]
	v_fma_f64 v[52:53], v[82:83], s[8:9], -v[52:53]
	;; [unrolled: 2-line block ×5, first 2 shown]
	v_add_f64 v[54:55], v[104:105], v[78:79]
	v_add_f64 v[78:79], v[104:105], v[132:133]
	v_add_f64 v[132:133], v[42:43], -v[118:119]
	v_add_f64 v[82:83], v[104:105], v[46:47]
	v_add_f64 v[42:43], v[126:127], v[42:43]
	;; [unrolled: 1-line block ×17, first 2 shown]
	v_mul_f64 v[142:143], v[132:133], s[20:21]
	v_add_f64 v[104:105], v[104:105], v[44:45]
	v_add_f64 v[134:135], v[40:41], -v[116:117]
	v_add_f64 v[140:141], v[58:59], -v[114:115]
	v_add_f64 v[136:137], v[56:57], v[112:113]
	v_add_f64 v[40:41], v[124:125], v[40:41]
	;; [unrolled: 1-line block ×3, first 2 shown]
	v_fma_f64 v[44:45], v[128:129], s[8:9], -v[142:143]
	v_fma_f64 v[142:143], v[128:129], s[8:9], v[142:143]
	v_add_f64 v[40:41], v[40:41], v[56:57]
	v_add_f64 v[42:43], v[42:43], v[66:67]
	;; [unrolled: 1-line block ×3, first 2 shown]
	v_mul_f64 v[144:145], v[134:135], s[20:21]
	v_add_f64 v[82:83], v[142:143], v[82:83]
	s_mov_b32 s21, 0x3fed1bb4
	v_add_f64 v[40:41], v[40:41], v[64:65]
	v_add_f64 v[42:43], v[42:43], v[70:71]
	v_fma_f64 v[46:47], v[130:131], s[8:9], v[144:145]
	v_fma_f64 v[142:143], v[130:131], s[8:9], -v[144:145]
	v_add_f64 v[40:41], v[40:41], v[68:69]
	v_add_f64 v[42:43], v[42:43], v[98:99]
	v_add_f64 v[46:47], v[46:47], v[149:150]
	v_mul_f64 v[149:150], v[140:141], s[18:19]
	v_add_f64 v[80:81], v[142:143], v[80:81]
	v_add_f64 v[40:41], v[40:41], v[96:97]
	v_add_f64 v[42:43], v[42:43], v[110:111]
	v_fma_f64 v[138:139], v[136:137], s[2:3], -v[149:150]
	v_fma_f64 v[142:143], v[136:137], s[2:3], v[149:150]
	v_add_f64 v[40:41], v[40:41], v[108:109]
	v_add_f64 v[42:43], v[42:43], v[114:115]
	;; [unrolled: 1-line block ×7, first 2 shown]
	v_fma_f64 v[155:156], v[138:139], s[2:3], v[153:154]
	v_fma_f64 v[142:143], v[138:139], s[2:3], -v[153:154]
	v_add_f64 v[40:41], v[40:41], v[116:117]
	v_add_f64 v[46:47], v[155:156], v[46:47]
	v_add_f64 v[155:156], v[66:67], -v[110:111]
	v_add_f64 v[80:81], v[142:143], v[80:81]
	v_mul_f64 v[159:160], v[155:156], s[22:23]
	v_fma_f64 v[161:162], v[157:158], s[16:17], -v[159:160]
	v_fma_f64 v[142:143], v[157:158], s[16:17], v[159:160]
	v_add_f64 v[44:45], v[161:162], v[44:45]
	v_add_f64 v[161:162], v[64:65], -v[108:109]
	v_add_f64 v[82:83], v[142:143], v[82:83]
	v_mul_f64 v[165:166], v[161:162], s[22:23]
	v_fma_f64 v[167:168], v[163:164], s[16:17], v[165:166]
	v_fma_f64 v[142:143], v[163:164], s[16:17], -v[165:166]
	v_add_f64 v[46:47], v[167:168], v[46:47]
	v_add_f64 v[167:168], v[70:71], -v[98:99]
	v_add_f64 v[142:143], v[142:143], v[80:81]
	v_add_f64 v[98:99], v[42:43], v[120:121]
	v_mul_f64 v[171:172], v[167:168], s[28:29]
	v_fma_f64 v[173:174], v[169:170], s[24:25], -v[171:172]
	v_fma_f64 v[80:81], v[169:170], s[24:25], v[171:172]
	v_add_f64 v[44:45], v[173:174], v[44:45]
	v_add_f64 v[173:174], v[68:69], -v[96:97]
	v_add_f64 v[80:81], v[80:81], v[82:83]
	v_add_f64 v[96:97], v[40:41], v[122:123]
	v_mov_b32_e32 v40, 0x8f
	v_mul_u32_u24_sdwa v40, v146, v40 dst_sel:DWORD dst_unused:UNUSED_PAD src0_sel:WORD_0 src1_sel:DWORD
	v_add_lshl_u32 v248, v40, v147, 4
	v_mul_f64 v[177:178], v[173:174], s[28:29]
	v_fma_f64 v[144:145], v[175:176], s[24:25], -v[177:178]
	v_fma_f64 v[179:180], v[175:176], s[24:25], v[177:178]
	v_mul_f64 v[177:178], v[167:168], s[30:31]
	v_add_f64 v[82:83], v[144:145], v[142:143]
	v_mul_f64 v[142:143], v[132:133], s[22:23]
	v_add_f64 v[46:47], v[179:180], v[46:47]
	v_mul_f64 v[179:180], v[173:174], s[30:31]
	v_fma_f64 v[144:145], v[128:129], s[16:17], -v[142:143]
	v_fma_f64 v[142:143], v[128:129], s[16:17], v[142:143]
	v_add_f64 v[50:51], v[144:145], v[50:51]
	v_mul_f64 v[144:145], v[134:135], s[22:23]
	v_add_f64 v[86:87], v[142:143], v[86:87]
	v_fma_f64 v[149:150], v[130:131], s[16:17], v[144:145]
	v_fma_f64 v[142:143], v[130:131], s[16:17], -v[144:145]
	v_fma_f64 v[144:145], v[175:176], s[10:11], -v[179:180]
	v_add_f64 v[48:49], v[149:150], v[48:49]
	v_mul_f64 v[149:150], v[140:141], s[36:37]
	v_add_f64 v[84:85], v[142:143], v[84:85]
	v_fma_f64 v[153:154], v[136:137], s[24:25], -v[149:150]
	v_fma_f64 v[142:143], v[136:137], s[24:25], v[149:150]
	v_add_f64 v[50:51], v[153:154], v[50:51]
	v_mul_f64 v[153:154], v[151:152], s[36:37]
	v_add_f64 v[86:87], v[142:143], v[86:87]
	v_fma_f64 v[159:160], v[138:139], s[24:25], v[153:154]
	v_fma_f64 v[142:143], v[138:139], s[24:25], -v[153:154]
	v_add_f64 v[48:49], v[159:160], v[48:49]
	v_mul_f64 v[159:160], v[155:156], s[34:35]
	v_add_f64 v[84:85], v[142:143], v[84:85]
	v_fma_f64 v[165:166], v[157:158], s[2:3], -v[159:160]
	v_fma_f64 v[142:143], v[157:158], s[2:3], v[159:160]
	v_add_f64 v[50:51], v[165:166], v[50:51]
	v_mul_f64 v[165:166], v[161:162], s[34:35]
	v_add_f64 v[86:87], v[142:143], v[86:87]
	v_fma_f64 v[142:143], v[163:164], s[2:3], -v[165:166]
	v_fma_f64 v[171:172], v[163:164], s[2:3], v[165:166]
	v_add_f64 v[142:143], v[142:143], v[84:85]
	v_fma_f64 v[84:85], v[169:170], s[10:11], v[177:178]
	v_add_f64 v[171:172], v[171:172], v[48:49]
	v_fma_f64 v[48:49], v[169:170], s[10:11], -v[177:178]
	v_mul_f64 v[177:178], v[167:168], s[22:23]
	v_add_f64 v[84:85], v[84:85], v[86:87]
	v_add_f64 v[86:87], v[144:145], v[142:143]
	v_mul_f64 v[142:143], v[132:133], s[36:37]
	v_add_f64 v[48:49], v[48:49], v[50:51]
	v_fma_f64 v[50:51], v[175:176], s[10:11], v[179:180]
	v_mul_f64 v[179:180], v[173:174], s[22:23]
	v_fma_f64 v[144:145], v[128:129], s[24:25], -v[142:143]
	v_fma_f64 v[142:143], v[128:129], s[24:25], v[142:143]
	v_add_f64 v[50:51], v[50:51], v[171:172]
	v_add_f64 v[54:55], v[144:145], v[54:55]
	v_mul_f64 v[144:145], v[134:135], s[36:37]
	v_add_f64 v[102:103], v[142:143], v[102:103]
	v_fma_f64 v[149:150], v[130:131], s[24:25], v[144:145]
	v_fma_f64 v[142:143], v[130:131], s[24:25], -v[144:145]
	v_fma_f64 v[144:145], v[175:176], s[16:17], -v[179:180]
	v_add_f64 v[52:53], v[149:150], v[52:53]
	v_mul_f64 v[149:150], v[140:141], s[20:21]
	v_add_f64 v[100:101], v[142:143], v[100:101]
	v_fma_f64 v[153:154], v[136:137], s[8:9], -v[149:150]
	v_fma_f64 v[142:143], v[136:137], s[8:9], v[149:150]
	v_add_f64 v[54:55], v[153:154], v[54:55]
	v_mul_f64 v[153:154], v[151:152], s[20:21]
	v_add_f64 v[102:103], v[142:143], v[102:103]
	v_fma_f64 v[159:160], v[138:139], s[8:9], v[153:154]
	v_fma_f64 v[142:143], v[138:139], s[8:9], -v[153:154]
	v_add_f64 v[52:53], v[159:160], v[52:53]
	v_mul_f64 v[159:160], v[155:156], s[26:27]
	v_add_f64 v[100:101], v[142:143], v[100:101]
	v_fma_f64 v[165:166], v[157:158], s[10:11], -v[159:160]
	v_fma_f64 v[142:143], v[157:158], s[10:11], v[159:160]
	v_add_f64 v[54:55], v[165:166], v[54:55]
	v_mul_f64 v[165:166], v[161:162], s[26:27]
	v_add_f64 v[102:103], v[142:143], v[102:103]
	v_fma_f64 v[142:143], v[163:164], s[10:11], -v[165:166]
	v_fma_f64 v[171:172], v[163:164], s[10:11], v[165:166]
	v_add_f64 v[142:143], v[142:143], v[100:101]
	v_fma_f64 v[100:101], v[169:170], s[16:17], v[177:178]
	v_add_f64 v[171:172], v[171:172], v[52:53]
	v_fma_f64 v[52:53], v[169:170], s[16:17], -v[177:178]
	v_mul_f64 v[177:178], v[167:168], s[20:21]
	v_add_f64 v[100:101], v[100:101], v[102:103]
	v_add_f64 v[102:103], v[144:145], v[142:143]
	v_mul_f64 v[142:143], v[132:133], s[34:35]
	v_add_f64 v[52:53], v[52:53], v[54:55]
	v_fma_f64 v[54:55], v[175:176], s[16:17], v[179:180]
	v_mul_f64 v[179:180], v[173:174], s[20:21]
	v_mul_f64 v[132:133], v[132:133], s[30:31]
	v_fma_f64 v[144:145], v[128:129], s[2:3], -v[142:143]
	v_fma_f64 v[142:143], v[128:129], s[2:3], v[142:143]
	v_add_f64 v[54:55], v[54:55], v[171:172]
	v_add_f64 v[62:63], v[144:145], v[62:63]
	v_mul_f64 v[144:145], v[134:135], s[34:35]
	v_add_f64 v[74:75], v[142:143], v[74:75]
	v_mul_f64 v[134:135], v[134:135], s[30:31]
	v_fma_f64 v[149:150], v[130:131], s[2:3], v[144:145]
	v_fma_f64 v[142:143], v[130:131], s[2:3], -v[144:145]
	v_fma_f64 v[144:145], v[175:176], s[8:9], -v[179:180]
	v_add_f64 v[60:61], v[149:150], v[60:61]
	v_mul_f64 v[149:150], v[140:141], s[26:27]
	v_add_f64 v[72:73], v[142:143], v[72:73]
	v_mul_f64 v[140:141], v[140:141], s[22:23]
	v_fma_f64 v[153:154], v[136:137], s[10:11], -v[149:150]
	v_fma_f64 v[142:143], v[136:137], s[10:11], v[149:150]
	v_add_f64 v[62:63], v[153:154], v[62:63]
	v_mul_f64 v[153:154], v[151:152], s[26:27]
	v_add_f64 v[74:75], v[142:143], v[74:75]
	v_fma_f64 v[159:160], v[138:139], s[10:11], v[153:154]
	v_fma_f64 v[142:143], v[138:139], s[10:11], -v[153:154]
	v_mul_f64 v[153:154], v[167:168], s[18:19]
	v_add_f64 v[60:61], v[159:160], v[60:61]
	v_mul_f64 v[159:160], v[155:156], s[28:29]
	v_add_f64 v[72:73], v[142:143], v[72:73]
	v_fma_f64 v[165:166], v[157:158], s[24:25], -v[159:160]
	v_fma_f64 v[142:143], v[157:158], s[24:25], v[159:160]
	v_add_f64 v[62:63], v[165:166], v[62:63]
	v_mul_f64 v[165:166], v[161:162], s[28:29]
	v_add_f64 v[74:75], v[142:143], v[74:75]
	v_fma_f64 v[142:143], v[163:164], s[24:25], -v[165:166]
	v_fma_f64 v[171:172], v[163:164], s[24:25], v[165:166]
	v_add_f64 v[142:143], v[142:143], v[72:73]
	v_fma_f64 v[72:73], v[169:170], s[8:9], v[177:178]
	v_add_f64 v[171:172], v[171:172], v[60:61]
	v_fma_f64 v[60:61], v[169:170], s[8:9], -v[177:178]
	v_add_f64 v[72:73], v[72:73], v[74:75]
	v_add_f64 v[74:75], v[144:145], v[142:143]
	v_fma_f64 v[142:143], v[128:129], s[10:11], -v[132:133]
	v_fma_f64 v[128:129], v[128:129], s[10:11], v[132:133]
	v_fma_f64 v[132:133], v[136:137], s[16:17], v[140:141]
	v_add_f64 v[60:61], v[60:61], v[62:63]
	v_fma_f64 v[62:63], v[175:176], s[8:9], v[179:180]
	v_add_f64 v[78:79], v[142:143], v[78:79]
	v_fma_f64 v[142:143], v[130:131], s[10:11], v[134:135]
	v_fma_f64 v[130:131], v[130:131], s[10:11], -v[134:135]
	v_add_f64 v[104:105], v[128:129], v[104:105]
	v_add_f64 v[62:63], v[62:63], v[171:172]
	;; [unrolled: 1-line block ×3, first 2 shown]
	v_fma_f64 v[142:143], v[136:137], s[16:17], -v[140:141]
	v_add_f64 v[106:107], v[130:131], v[106:107]
	v_add_f64 v[104:105], v[132:133], v[104:105]
	v_fma_f64 v[132:133], v[169:170], s[2:3], v[153:154]
	v_add_f64 v[78:79], v[142:143], v[78:79]
	v_mul_f64 v[142:143], v[151:152], s[22:23]
	v_fma_f64 v[144:145], v[138:139], s[16:17], v[142:143]
	v_fma_f64 v[134:135], v[138:139], s[16:17], -v[142:143]
	v_add_f64 v[76:77], v[144:145], v[76:77]
	v_mul_f64 v[144:145], v[155:156], s[20:21]
	v_mul_f64 v[155:156], v[173:174], s[18:19]
	v_add_f64 v[106:107], v[134:135], v[106:107]
	v_fma_f64 v[149:150], v[157:158], s[8:9], -v[144:145]
	v_fma_f64 v[128:129], v[157:158], s[8:9], v[144:145]
	v_fma_f64 v[134:135], v[175:176], s[2:3], -v[155:156]
	v_add_f64 v[78:79], v[149:150], v[78:79]
	v_mul_f64 v[149:150], v[161:162], s[20:21]
	v_add_f64 v[104:105], v[128:129], v[104:105]
	v_fma_f64 v[151:152], v[163:164], s[8:9], v[149:150]
	v_fma_f64 v[130:131], v[163:164], s[8:9], -v[149:150]
	v_add_f64 v[104:105], v[132:133], v[104:105]
	v_add_f64 v[151:152], v[151:152], v[76:77]
	v_fma_f64 v[76:77], v[169:170], s[2:3], -v[153:154]
	v_add_f64 v[106:107], v[130:131], v[106:107]
	v_add_f64 v[76:77], v[76:77], v[78:79]
	v_fma_f64 v[78:79], v[175:176], s[2:3], v[155:156]
	v_add_f64 v[106:107], v[134:135], v[106:107]
	v_add_f64 v[78:79], v[78:79], v[151:152]
	ds_write_b128 v248, v[44:47] offset:208
	ds_write_b128 v248, v[48:51] offset:416
	;; [unrolled: 1-line block ×10, first 2 shown]
	ds_write_b128 v248, v[96:99]
	s_waitcnt lgkmcnt(0)
	s_barrier
	buffer_gl0_inv
	s_and_saveexec_b32 s2, vcc_lo
	s_cbranch_execz .LBB0_9
; %bb.8:
	ds_read_b128 v[96:99], v245
	ds_read_b128 v[44:47], v245 offset:2288
	ds_read_b128 v[48:51], v245 offset:4576
	;; [unrolled: 1-line block ×12, first 2 shown]
.LBB0_9:
	s_or_b32 exec_lo, exec_lo, s2
	v_add_nc_u32_e32 v40, 0xffffff71, v246
	s_mov_b32 s22, 0x42a4c3d2
	s_mov_b32 s26, 0x66966769
	;; [unrolled: 1-line block ×4, first 2 shown]
	v_cndmask_b32_e32 v40, v40, v246, vcc_lo
	s_mov_b32 s30, 0x4bc48dbf
	s_mov_b32 s11, 0xbfddbe06
	s_mov_b32 s10, 0x4267c47c
	s_mov_b32 s23, 0xbfea55e2
	v_mul_i32_i24_e32 v41, 0xc0, v40
	v_mul_hi_i32_i24_e32 v40, 0xc0, v40
	s_mov_b32 s27, 0xbfefc445
	s_mov_b32 s21, 0xbfedeba7
	;; [unrolled: 1-line block ×3, first 2 shown]
	v_add_co_u32 v114, s0, s0, v41
	v_add_co_ci_u32_e64 v115, s0, s1, v40, s0
	s_mov_b32 s31, 0xbfcea1e5
	v_add_co_u32 v112, s0, 0x800, v114
	v_add_co_ci_u32_e64 v113, s0, 0, v115, s0
	v_add_co_u32 v56, s0, 0x820, v114
	v_add_co_ci_u32_e64 v57, s0, 0, v115, s0
	global_load_dwordx4 v[68:71], v[112:113], off offset:32
	s_mov_b32 s28, 0x93053d00
	s_clause 0x1
	global_load_dwordx4 v[64:67], v[56:57], off offset:16
	global_load_dwordx4 v[40:43], v[56:57], off offset:48
	s_mov_b32 s29, 0xbfef11f4
	s_mov_b32 s2, 0xebaa3ed8
	;; [unrolled: 1-line block ×15, first 2 shown]
	s_waitcnt vmcnt(2) lgkmcnt(11)
	v_mul_f64 v[58:59], v[46:47], v[70:71]
	v_mul_f64 v[110:111], v[44:45], v[70:71]
	v_fma_f64 v[108:109], v[44:45], v[68:69], -v[58:59]
	global_load_dwordx4 v[56:59], v[56:57], off offset:32
	s_waitcnt vmcnt(2) lgkmcnt(10)
	v_mul_f64 v[44:45], v[50:51], v[66:67]
	v_fma_f64 v[110:111], v[46:47], v[68:69], v[110:111]
	v_add_f64 v[181:182], v[96:97], v[108:109]
	v_fma_f64 v[120:121], v[48:49], v[64:65], -v[44:45]
	v_mul_f64 v[44:45], v[48:49], v[66:67]
	v_add_f64 v[183:184], v[98:99], v[110:111]
	v_fma_f64 v[122:123], v[50:51], v[64:65], v[44:45]
	s_waitcnt vmcnt(0) lgkmcnt(9)
	v_mul_f64 v[44:45], v[54:55], v[58:59]
	v_fma_f64 v[132:133], v[52:53], v[56:57], -v[44:45]
	v_mul_f64 v[44:45], v[52:53], v[58:59]
	v_fma_f64 v[134:135], v[54:55], v[56:57], v[44:45]
	s_waitcnt lgkmcnt(8)
	v_mul_f64 v[44:45], v[62:63], v[42:43]
	v_fma_f64 v[144:145], v[60:61], v[40:41], -v[44:45]
	v_mul_f64 v[44:45], v[60:61], v[42:43]
	v_fma_f64 v[146:147], v[62:63], v[40:41], v[44:45]
	s_clause 0x1
	global_load_dwordx4 v[44:47], v[112:113], off offset:96
	global_load_dwordx4 v[60:63], v[112:113], off offset:160
	s_waitcnt vmcnt(1) lgkmcnt(7)
	v_mul_f64 v[48:49], v[78:79], v[46:47]
	v_fma_f64 v[149:150], v[76:77], v[44:45], -v[48:49]
	v_mul_f64 v[48:49], v[76:77], v[46:47]
	v_add_co_u32 v76, s0, 0x860, v114
	v_add_co_ci_u32_e64 v77, s0, 0, v115, s0
	v_fma_f64 v[151:152], v[78:79], v[44:45], v[48:49]
	s_clause 0x1
	global_load_dwordx4 v[52:55], v[76:77], off offset:16
	global_load_dwordx4 v[48:51], v[76:77], off offset:32
	s_waitcnt vmcnt(1) lgkmcnt(6)
	v_mul_f64 v[78:79], v[106:107], v[54:55]
	v_fma_f64 v[153:154], v[104:105], v[52:53], -v[78:79]
	v_mul_f64 v[78:79], v[104:105], v[54:55]
	v_add_co_u32 v104, s0, 0x8a0, v114
	v_add_co_ci_u32_e64 v105, s0, 0, v115, s0
	s_mov_b32 s0, 0xe00740e9
	s_mov_b32 s1, 0x3fec55a7
	v_fma_f64 v[155:156], v[106:107], v[52:53], v[78:79]
	s_waitcnt vmcnt(0) lgkmcnt(5)
	v_mul_f64 v[78:79], v[74:75], v[50:51]
	v_fma_f64 v[157:158], v[72:73], v[48:49], -v[78:79]
	v_mul_f64 v[72:73], v[72:73], v[50:51]
	v_add_f64 v[235:236], v[153:154], v[157:158]
	v_fma_f64 v[159:160], v[74:75], v[48:49], v[72:73]
	s_clause 0x1
	global_load_dwordx4 v[72:75], v[76:77], off offset:48
	global_load_dwordx4 v[76:79], v[104:105], off offset:16
	v_add_f64 v[241:242], v[155:156], v[159:160]
	s_waitcnt vmcnt(1) lgkmcnt(4)
	v_mul_f64 v[106:107], v[102:103], v[74:75]
	v_fma_f64 v[161:162], v[100:101], v[72:73], -v[106:107]
	v_mul_f64 v[100:101], v[100:101], v[74:75]
	v_add_f64 v[229:230], v[149:150], -v[161:162]
	v_fma_f64 v[100:101], v[102:103], v[72:73], v[100:101]
	s_waitcnt lgkmcnt(3)
	v_mul_f64 v[102:103], v[86:87], v[62:63]
	v_mul_f64 v[231:232], v[229:230], s[24:25]
	v_add_f64 v[225:226], v[151:152], -v[100:101]
	v_fma_f64 v[102:103], v[84:85], v[60:61], -v[102:103]
	v_mul_f64 v[84:85], v[84:85], v[62:63]
	v_mul_f64 v[227:228], v[225:226], s[24:25]
	v_add_f64 v[211:212], v[144:145], -v[102:103]
	v_fma_f64 v[163:164], v[86:87], v[60:61], v[84:85]
	s_waitcnt vmcnt(0) lgkmcnt(2)
	v_mul_f64 v[84:85], v[82:83], v[78:79]
	v_mul_f64 v[223:224], v[211:212], s[20:21]
	v_add_f64 v[209:210], v[146:147], -v[163:164]
	v_fma_f64 v[165:166], v[80:81], v[76:77], -v[84:85]
	v_mul_f64 v[80:81], v[80:81], v[78:79]
	v_mul_f64 v[221:222], v[209:210], s[20:21]
	v_fma_f64 v[167:168], v[82:83], v[76:77], v[80:81]
	s_clause 0x1
	global_load_dwordx4 v[80:83], v[104:105], off offset:32
	global_load_dwordx4 v[84:87], v[104:105], off offset:48
	s_waitcnt vmcnt(1) lgkmcnt(1)
	v_mul_f64 v[104:105], v[90:91], v[82:83]
	v_fma_f64 v[169:170], v[88:89], v[80:81], -v[104:105]
	v_mul_f64 v[88:89], v[88:89], v[82:83]
	v_fma_f64 v[171:172], v[90:91], v[80:81], v[88:89]
	s_waitcnt vmcnt(0) lgkmcnt(0)
	v_mul_f64 v[88:89], v[94:95], v[86:87]
	v_fma_f64 v[173:174], v[92:93], v[84:85], -v[88:89]
	v_mul_f64 v[88:89], v[92:93], v[86:87]
	v_add_f64 v[112:113], v[108:109], v[173:174]
	v_fma_f64 v[175:176], v[94:95], v[84:85], v[88:89]
	v_add_f64 v[88:89], v[110:111], -v[175:176]
	v_add_f64 v[138:139], v[110:111], v[175:176]
	v_mul_f64 v[90:91], v[88:89], s[10:11]
	v_mul_f64 v[92:93], v[88:89], s[22:23]
	;; [unrolled: 1-line block ×6, first 2 shown]
	v_fma_f64 v[114:115], v[112:113], s[0:1], -v[90:91]
	v_fma_f64 v[90:91], v[112:113], s[0:1], v[90:91]
	v_fma_f64 v[118:119], v[112:113], s[2:3], -v[94:95]
	v_fma_f64 v[124:125], v[112:113], s[2:3], v[94:95]
	v_fma_f64 v[126:127], v[112:113], s[16:17], -v[104:105]
	v_fma_f64 v[142:143], v[112:113], s[28:29], -v[88:89]
	v_fma_f64 v[177:178], v[112:113], s[28:29], v[88:89]
	v_add_f64 v[88:89], v[108:109], -v[173:174]
	v_fma_f64 v[128:129], v[112:113], s[16:17], v[104:105]
	v_fma_f64 v[130:131], v[112:113], s[18:19], -v[106:107]
	v_fma_f64 v[140:141], v[112:113], s[18:19], v[106:107]
	v_fma_f64 v[116:117], v[112:113], s[8:9], -v[92:93]
	v_fma_f64 v[92:93], v[112:113], s[8:9], v[92:93]
	v_add_f64 v[201:202], v[96:97], v[114:115]
	v_add_f64 v[90:91], v[96:97], v[90:91]
	;; [unrolled: 1-line block ×6, first 2 shown]
	v_mul_f64 v[94:95], v[88:89], s[10:11]
	v_mul_f64 v[104:105], v[88:89], s[22:23]
	;; [unrolled: 1-line block ×6, first 2 shown]
	v_add_f64 v[110:111], v[96:97], v[116:117]
	v_add_f64 v[114:115], v[96:97], v[128:129]
	s_mov_b32 s11, 0x3fddbe06
	v_fma_f64 v[179:180], v[138:139], s[0:1], v[94:95]
	v_fma_f64 v[94:95], v[138:139], s[0:1], -v[94:95]
	v_fma_f64 v[185:186], v[138:139], s[8:9], v[104:105]
	v_fma_f64 v[104:105], v[138:139], s[8:9], -v[104:105]
	v_fma_f64 v[189:190], v[138:139], s[2:3], -v[106:107]
	v_fma_f64 v[197:198], v[138:139], s[28:29], v[88:89]
	v_fma_f64 v[199:200], v[138:139], s[28:29], -v[88:89]
	v_fma_f64 v[187:188], v[138:139], s[2:3], v[106:107]
	v_fma_f64 v[191:192], v[138:139], s[16:17], v[112:113]
	v_fma_f64 v[112:113], v[138:139], s[16:17], -v[112:113]
	v_fma_f64 v[193:194], v[138:139], s[18:19], v[136:137]
	v_fma_f64 v[195:196], v[138:139], s[18:19], -v[136:137]
	v_add_f64 v[138:139], v[96:97], v[130:131]
	v_add_f64 v[130:131], v[96:97], v[140:141]
	v_add_f64 v[106:107], v[96:97], v[124:125]
	v_add_f64 v[203:204], v[98:99], v[179:180]
	v_add_f64 v[88:89], v[98:99], v[94:95]
	v_add_f64 v[94:95], v[96:97], v[92:93]
	v_add_f64 v[92:93], v[98:99], v[104:105]
	v_add_f64 v[104:105], v[98:99], v[189:190]
	v_add_f64 v[189:190], v[122:123], -v[171:172]
	v_add_f64 v[108:109], v[98:99], v[185:186]
	v_add_f64 v[140:141], v[98:99], v[197:198]
	;; [unrolled: 1-line block ×4, first 2 shown]
	v_add_f64 v[191:192], v[120:121], -v[169:170]
	v_add_f64 v[116:117], v[98:99], v[187:188]
	v_add_f64 v[179:180], v[98:99], v[199:200]
	;; [unrolled: 1-line block ×9, first 2 shown]
	v_mul_f64 v[197:198], v[189:190], s[22:23]
	v_mul_f64 v[199:200], v[191:192], s[22:23]
	v_add_f64 v[120:121], v[120:121], v[132:133]
	v_add_f64 v[122:123], v[122:123], v[134:135]
	v_fma_f64 v[96:97], v[185:186], s[8:9], -v[197:198]
	v_fma_f64 v[197:198], v[185:186], s[8:9], v[197:198]
	v_fma_f64 v[98:99], v[187:188], s[8:9], v[199:200]
	v_add_f64 v[120:121], v[120:121], v[144:145]
	v_add_f64 v[122:123], v[122:123], v[146:147]
	v_add_f64 v[96:97], v[96:97], v[201:202]
	v_add_f64 v[201:202], v[134:135], -v[167:168]
	v_add_f64 v[90:91], v[197:198], v[90:91]
	v_fma_f64 v[197:198], v[187:188], s[8:9], -v[199:200]
	v_add_f64 v[98:99], v[98:99], v[203:204]
	v_add_f64 v[203:204], v[132:133], -v[165:166]
	v_add_f64 v[120:121], v[120:121], v[149:150]
	v_add_f64 v[122:123], v[122:123], v[151:152]
	v_mul_f64 v[217:218], v[201:202], s[26:27]
	v_add_f64 v[88:89], v[197:198], v[88:89]
	v_mul_f64 v[219:220], v[203:204], s[26:27]
	v_add_f64 v[120:121], v[120:121], v[153:154]
	v_add_f64 v[122:123], v[122:123], v[155:156]
	v_fma_f64 v[195:196], v[193:194], s[2:3], -v[217:218]
	v_fma_f64 v[197:198], v[193:194], s[2:3], v[217:218]
	v_add_f64 v[120:121], v[120:121], v[157:158]
	v_add_f64 v[122:123], v[122:123], v[159:160]
	;; [unrolled: 1-line block ×6, first 2 shown]
	v_fma_f64 v[205:206], v[195:196], s[2:3], v[219:220]
	v_fma_f64 v[197:198], v[195:196], s[2:3], -v[219:220]
	v_add_f64 v[98:99], v[205:206], v[98:99]
	v_add_f64 v[205:206], v[144:145], v[102:103]
	;; [unrolled: 1-line block ×4, first 2 shown]
	v_fma_f64 v[207:208], v[205:206], s[16:17], -v[221:222]
	v_fma_f64 v[197:198], v[205:206], s[16:17], v[221:222]
	v_add_f64 v[102:103], v[102:103], v[165:166]
	v_add_f64 v[96:97], v[207:208], v[96:97]
	;; [unrolled: 1-line block ×5, first 2 shown]
	v_fma_f64 v[213:214], v[207:208], s[16:17], v[223:224]
	v_fma_f64 v[197:198], v[207:208], s[16:17], -v[223:224]
	v_add_f64 v[98:99], v[213:214], v[98:99]
	v_add_f64 v[213:214], v[149:150], v[161:162]
	;; [unrolled: 1-line block ×3, first 2 shown]
	v_fma_f64 v[215:216], v[213:214], s[18:19], -v[227:228]
	v_fma_f64 v[197:198], v[213:214], s[18:19], v[227:228]
	v_add_f64 v[96:97], v[215:216], v[96:97]
	v_add_f64 v[215:216], v[151:152], v[100:101]
	;; [unrolled: 1-line block ×4, first 2 shown]
	v_fma_f64 v[233:234], v[215:216], s[18:19], v[231:232]
	v_fma_f64 v[197:198], v[215:216], s[18:19], -v[231:232]
	v_add_f64 v[100:101], v[100:101], v[163:164]
	v_add_f64 v[98:99], v[233:234], v[98:99]
	v_add_f64 v[233:234], v[155:156], -v[159:160]
	v_add_f64 v[197:198], v[197:198], v[88:89]
	v_add_f64 v[100:101], v[100:101], v[167:168]
	v_mul_f64 v[237:238], v[233:234], s[30:31]
	v_add_f64 v[120:121], v[100:101], v[171:172]
	v_add_f64 v[100:101], v[102:103], v[173:174]
	v_fma_f64 v[239:240], v[235:236], s[28:29], -v[237:238]
	v_fma_f64 v[88:89], v[235:236], s[28:29], v[237:238]
	v_add_f64 v[102:103], v[120:121], v[175:176]
	v_add_f64 v[96:97], v[239:240], v[96:97]
	v_add_f64 v[239:240], v[153:154], -v[157:158]
	v_add_f64 v[88:89], v[88:89], v[90:91]
	v_mul_f64 v[243:244], v[239:240], s[30:31]
	v_fma_f64 v[199:200], v[241:242], s[28:29], -v[243:244]
	v_fma_f64 v[249:250], v[241:242], s[28:29], v[243:244]
	v_mul_f64 v[243:244], v[233:234], s[10:11]
	v_add_f64 v[90:91], v[199:200], v[197:198]
	v_mul_f64 v[197:198], v[189:190], s[20:21]
	v_add_f64 v[98:99], v[249:250], v[98:99]
	v_mul_f64 v[249:250], v[239:240], s[10:11]
	v_fma_f64 v[199:200], v[185:186], s[16:17], -v[197:198]
	v_fma_f64 v[197:198], v[185:186], s[16:17], v[197:198]
	v_add_f64 v[110:111], v[199:200], v[110:111]
	v_mul_f64 v[199:200], v[191:192], s[20:21]
	v_add_f64 v[94:95], v[197:198], v[94:95]
	v_fma_f64 v[217:218], v[187:188], s[16:17], v[199:200]
	v_fma_f64 v[197:198], v[187:188], s[16:17], -v[199:200]
	v_fma_f64 v[199:200], v[241:242], s[0:1], -v[249:250]
	v_add_f64 v[108:109], v[217:218], v[108:109]
	v_mul_f64 v[217:218], v[201:202], s[30:31]
	v_add_f64 v[92:93], v[197:198], v[92:93]
	v_fma_f64 v[219:220], v[193:194], s[28:29], -v[217:218]
	v_fma_f64 v[197:198], v[193:194], s[28:29], v[217:218]
	v_add_f64 v[110:111], v[219:220], v[110:111]
	v_mul_f64 v[219:220], v[203:204], s[30:31]
	v_add_f64 v[94:95], v[197:198], v[94:95]
	v_fma_f64 v[221:222], v[195:196], s[28:29], v[219:220]
	v_fma_f64 v[197:198], v[195:196], s[28:29], -v[219:220]
	v_add_f64 v[108:109], v[221:222], v[108:109]
	v_mul_f64 v[221:222], v[209:210], s[36:37]
	v_add_f64 v[92:93], v[197:198], v[92:93]
	v_fma_f64 v[223:224], v[205:206], s[18:19], -v[221:222]
	v_fma_f64 v[197:198], v[205:206], s[18:19], v[221:222]
	v_add_f64 v[110:111], v[223:224], v[110:111]
	v_mul_f64 v[223:224], v[211:212], s[36:37]
	v_add_f64 v[94:95], v[197:198], v[94:95]
	v_fma_f64 v[227:228], v[207:208], s[18:19], v[223:224]
	v_fma_f64 v[197:198], v[207:208], s[18:19], -v[223:224]
	v_add_f64 v[108:109], v[227:228], v[108:109]
	v_mul_f64 v[227:228], v[225:226], s[34:35]
	v_add_f64 v[92:93], v[197:198], v[92:93]
	v_fma_f64 v[231:232], v[213:214], s[2:3], -v[227:228]
	v_fma_f64 v[197:198], v[213:214], s[2:3], v[227:228]
	v_add_f64 v[110:111], v[231:232], v[110:111]
	v_mul_f64 v[231:232], v[229:230], s[34:35]
	v_add_f64 v[94:95], v[197:198], v[94:95]
	v_fma_f64 v[197:198], v[215:216], s[2:3], -v[231:232]
	v_fma_f64 v[237:238], v[215:216], s[2:3], v[231:232]
	v_add_f64 v[197:198], v[197:198], v[92:93]
	v_fma_f64 v[92:93], v[235:236], s[0:1], v[243:244]
	v_add_f64 v[237:238], v[237:238], v[108:109]
	v_fma_f64 v[108:109], v[235:236], s[0:1], -v[243:244]
	v_mul_f64 v[243:244], v[233:234], s[24:25]
	v_add_f64 v[92:93], v[92:93], v[94:95]
	v_add_f64 v[94:95], v[199:200], v[197:198]
	v_mul_f64 v[197:198], v[189:190], s[30:31]
	v_add_f64 v[108:109], v[108:109], v[110:111]
	v_fma_f64 v[110:111], v[241:242], s[0:1], v[249:250]
	v_mul_f64 v[249:250], v[239:240], s[24:25]
	v_fma_f64 v[199:200], v[185:186], s[28:29], -v[197:198]
	v_fma_f64 v[197:198], v[185:186], s[28:29], v[197:198]
	v_add_f64 v[110:111], v[110:111], v[237:238]
	v_add_f64 v[118:119], v[199:200], v[118:119]
	v_mul_f64 v[199:200], v[191:192], s[30:31]
	v_add_f64 v[106:107], v[197:198], v[106:107]
	s_mov_b32 s31, 0x3fcea1e5
	v_fma_f64 v[217:218], v[187:188], s[28:29], v[199:200]
	v_fma_f64 v[197:198], v[187:188], s[28:29], -v[199:200]
	v_fma_f64 v[199:200], v[241:242], s[18:19], -v[249:250]
	v_add_f64 v[116:117], v[217:218], v[116:117]
	v_mul_f64 v[217:218], v[201:202], s[38:39]
	v_add_f64 v[104:105], v[197:198], v[104:105]
	v_fma_f64 v[219:220], v[193:194], s[16:17], -v[217:218]
	v_fma_f64 v[197:198], v[193:194], s[16:17], v[217:218]
	v_add_f64 v[118:119], v[219:220], v[118:119]
	v_mul_f64 v[219:220], v[203:204], s[38:39]
	v_add_f64 v[106:107], v[197:198], v[106:107]
	v_fma_f64 v[221:222], v[195:196], s[16:17], v[219:220]
	v_fma_f64 v[197:198], v[195:196], s[16:17], -v[219:220]
	v_add_f64 v[116:117], v[221:222], v[116:117]
	v_mul_f64 v[221:222], v[209:210], s[10:11]
	v_add_f64 v[104:105], v[197:198], v[104:105]
	v_fma_f64 v[223:224], v[205:206], s[0:1], -v[221:222]
	v_fma_f64 v[197:198], v[205:206], s[0:1], v[221:222]
	v_add_f64 v[118:119], v[223:224], v[118:119]
	v_mul_f64 v[223:224], v[211:212], s[10:11]
	v_add_f64 v[106:107], v[197:198], v[106:107]
	v_fma_f64 v[227:228], v[207:208], s[0:1], v[223:224]
	v_fma_f64 v[197:198], v[207:208], s[0:1], -v[223:224]
	v_add_f64 v[116:117], v[227:228], v[116:117]
	v_mul_f64 v[227:228], v[225:226], s[22:23]
	v_add_f64 v[104:105], v[197:198], v[104:105]
	v_fma_f64 v[231:232], v[213:214], s[8:9], -v[227:228]
	v_fma_f64 v[197:198], v[213:214], s[8:9], v[227:228]
	v_add_f64 v[118:119], v[231:232], v[118:119]
	v_mul_f64 v[231:232], v[229:230], s[22:23]
	v_add_f64 v[106:107], v[197:198], v[106:107]
	v_fma_f64 v[197:198], v[215:216], s[8:9], -v[231:232]
	v_fma_f64 v[237:238], v[215:216], s[8:9], v[231:232]
	v_add_f64 v[197:198], v[197:198], v[104:105]
	v_fma_f64 v[104:105], v[235:236], s[18:19], v[243:244]
	v_add_f64 v[237:238], v[237:238], v[116:117]
	v_fma_f64 v[116:117], v[235:236], s[18:19], -v[243:244]
	v_add_f64 v[104:105], v[104:105], v[106:107]
	v_add_f64 v[106:107], v[199:200], v[197:198]
	v_mul_f64 v[197:198], v[189:190], s[36:37]
	v_add_f64 v[116:117], v[116:117], v[118:119]
	v_fma_f64 v[118:119], v[241:242], s[18:19], v[249:250]
	v_fma_f64 v[199:200], v[185:186], s[18:19], -v[197:198]
	v_fma_f64 v[197:198], v[185:186], s[18:19], v[197:198]
	v_add_f64 v[118:119], v[118:119], v[237:238]
	v_add_f64 v[126:127], v[199:200], v[126:127]
	v_mul_f64 v[199:200], v[191:192], s[36:37]
	v_add_f64 v[114:115], v[197:198], v[114:115]
	v_fma_f64 v[217:218], v[187:188], s[18:19], v[199:200]
	v_fma_f64 v[197:198], v[187:188], s[18:19], -v[199:200]
	v_add_f64 v[124:125], v[217:218], v[124:125]
	v_mul_f64 v[217:218], v[201:202], s[10:11]
	v_add_f64 v[112:113], v[197:198], v[112:113]
	v_fma_f64 v[219:220], v[193:194], s[0:1], -v[217:218]
	v_fma_f64 v[197:198], v[193:194], s[0:1], v[217:218]
	v_add_f64 v[126:127], v[219:220], v[126:127]
	v_mul_f64 v[219:220], v[203:204], s[10:11]
	v_add_f64 v[114:115], v[197:198], v[114:115]
	v_fma_f64 v[221:222], v[195:196], s[0:1], v[219:220]
	v_fma_f64 v[197:198], v[195:196], s[0:1], -v[219:220]
	v_add_f64 v[124:125], v[221:222], v[124:125]
	v_mul_f64 v[221:222], v[209:210], s[26:27]
	v_add_f64 v[112:113], v[197:198], v[112:113]
	v_fma_f64 v[223:224], v[205:206], s[2:3], -v[221:222]
	v_fma_f64 v[197:198], v[205:206], s[2:3], v[221:222]
	v_add_f64 v[126:127], v[223:224], v[126:127]
	v_mul_f64 v[223:224], v[211:212], s[26:27]
	v_add_f64 v[114:115], v[197:198], v[114:115]
	s_mov_b32 s27, 0x3fea55e2
	s_mov_b32 s26, s22
	v_mul_f64 v[243:244], v[233:234], s[26:27]
	v_mul_f64 v[249:250], v[239:240], s[26:27]
	v_fma_f64 v[227:228], v[207:208], s[2:3], v[223:224]
	v_fma_f64 v[197:198], v[207:208], s[2:3], -v[223:224]
	v_fma_f64 v[199:200], v[241:242], s[8:9], -v[249:250]
	v_add_f64 v[124:125], v[227:228], v[124:125]
	v_mul_f64 v[227:228], v[225:226], s[30:31]
	v_add_f64 v[112:113], v[197:198], v[112:113]
	v_fma_f64 v[231:232], v[213:214], s[28:29], -v[227:228]
	v_fma_f64 v[197:198], v[213:214], s[28:29], v[227:228]
	v_add_f64 v[126:127], v[231:232], v[126:127]
	v_mul_f64 v[231:232], v[229:230], s[30:31]
	v_add_f64 v[114:115], v[197:198], v[114:115]
	v_fma_f64 v[197:198], v[215:216], s[28:29], -v[231:232]
	v_fma_f64 v[237:238], v[215:216], s[28:29], v[231:232]
	v_add_f64 v[197:198], v[197:198], v[112:113]
	v_fma_f64 v[112:113], v[235:236], s[8:9], v[243:244]
	v_add_f64 v[237:238], v[237:238], v[124:125]
	v_fma_f64 v[124:125], v[235:236], s[8:9], -v[243:244]
	v_mul_f64 v[243:244], v[233:234], s[20:21]
	v_add_f64 v[112:113], v[112:113], v[114:115]
	v_add_f64 v[114:115], v[199:200], v[197:198]
	v_mul_f64 v[197:198], v[189:190], s[34:35]
	v_add_f64 v[124:125], v[124:125], v[126:127]
	v_fma_f64 v[126:127], v[241:242], s[8:9], v[249:250]
	v_mul_f64 v[249:250], v[239:240], s[20:21]
	v_mul_f64 v[189:190], v[189:190], s[10:11]
	v_fma_f64 v[199:200], v[185:186], s[2:3], -v[197:198]
	v_fma_f64 v[197:198], v[185:186], s[2:3], v[197:198]
	v_add_f64 v[126:127], v[126:127], v[237:238]
	v_fma_f64 v[120:121], v[185:186], s[0:1], v[189:190]
	v_add_f64 v[138:139], v[199:200], v[138:139]
	v_mul_f64 v[199:200], v[191:192], s[34:35]
	v_add_f64 v[130:131], v[197:198], v[130:131]
	v_mul_f64 v[191:192], v[191:192], s[10:11]
	v_add_f64 v[120:121], v[120:121], v[177:178]
	v_fma_f64 v[217:218], v[187:188], s[2:3], v[199:200]
	v_fma_f64 v[197:198], v[187:188], s[2:3], -v[199:200]
	v_fma_f64 v[199:200], v[241:242], s[16:17], -v[249:250]
	;; [unrolled: 1-line block ×3, first 2 shown]
	v_add_f64 v[136:137], v[217:218], v[136:137]
	v_mul_f64 v[217:218], v[201:202], s[22:23]
	v_add_f64 v[128:129], v[197:198], v[128:129]
	v_add_f64 v[122:123], v[122:123], v[179:180]
	v_fma_f64 v[219:220], v[193:194], s[8:9], -v[217:218]
	v_fma_f64 v[197:198], v[193:194], s[8:9], v[217:218]
	v_add_f64 v[138:139], v[219:220], v[138:139]
	v_mul_f64 v[219:220], v[203:204], s[22:23]
	v_add_f64 v[130:131], v[197:198], v[130:131]
	v_fma_f64 v[221:222], v[195:196], s[8:9], v[219:220]
	v_fma_f64 v[197:198], v[195:196], s[8:9], -v[219:220]
	v_mul_f64 v[219:220], v[233:234], s[34:35]
	v_add_f64 v[136:137], v[221:222], v[136:137]
	v_mul_f64 v[221:222], v[209:210], s[30:31]
	v_add_f64 v[128:129], v[197:198], v[128:129]
	v_fma_f64 v[223:224], v[205:206], s[28:29], -v[221:222]
	v_fma_f64 v[197:198], v[205:206], s[28:29], v[221:222]
	v_mul_f64 v[221:222], v[239:240], s[34:35]
	v_add_f64 v[138:139], v[223:224], v[138:139]
	v_mul_f64 v[223:224], v[211:212], s[30:31]
	v_add_f64 v[130:131], v[197:198], v[130:131]
	v_fma_f64 v[227:228], v[207:208], s[28:29], v[223:224]
	v_fma_f64 v[197:198], v[207:208], s[28:29], -v[223:224]
	v_add_f64 v[136:137], v[227:228], v[136:137]
	v_mul_f64 v[227:228], v[225:226], s[10:11]
	v_add_f64 v[128:129], v[197:198], v[128:129]
	v_fma_f64 v[231:232], v[213:214], s[0:1], -v[227:228]
	v_fma_f64 v[197:198], v[213:214], s[0:1], v[227:228]
	v_add_f64 v[138:139], v[231:232], v[138:139]
	v_mul_f64 v[231:232], v[229:230], s[10:11]
	v_add_f64 v[130:131], v[197:198], v[130:131]
	v_fma_f64 v[197:198], v[215:216], s[0:1], -v[231:232]
	v_fma_f64 v[237:238], v[215:216], s[0:1], v[231:232]
	v_add_f64 v[197:198], v[197:198], v[128:129]
	v_fma_f64 v[128:129], v[235:236], s[16:17], v[243:244]
	v_add_f64 v[237:238], v[237:238], v[136:137]
	v_fma_f64 v[136:137], v[235:236], s[16:17], -v[243:244]
	v_add_f64 v[128:129], v[128:129], v[130:131]
	v_add_f64 v[130:131], v[199:200], v[197:198]
	v_fma_f64 v[197:198], v[185:186], s[0:1], -v[189:190]
	v_add_f64 v[136:137], v[136:137], v[138:139]
	v_fma_f64 v[138:139], v[241:242], s[16:17], v[249:250]
	v_add_f64 v[142:143], v[197:198], v[142:143]
	v_fma_f64 v[197:198], v[187:188], s[0:1], v[191:192]
	v_add_f64 v[138:139], v[138:139], v[237:238]
	v_add_f64 v[140:141], v[197:198], v[140:141]
	v_mul_f64 v[197:198], v[201:202], s[24:25]
	v_fma_f64 v[199:200], v[193:194], s[18:19], -v[197:198]
	v_fma_f64 v[132:133], v[193:194], s[18:19], v[197:198]
	v_add_f64 v[142:143], v[199:200], v[142:143]
	v_mul_f64 v[199:200], v[203:204], s[24:25]
	v_add_f64 v[120:121], v[132:133], v[120:121]
	v_fma_f64 v[201:202], v[195:196], s[18:19], v[199:200]
	v_fma_f64 v[134:135], v[195:196], s[18:19], -v[199:200]
	v_add_f64 v[140:141], v[201:202], v[140:141]
	v_mul_f64 v[201:202], v[209:210], s[26:27]
	v_add_f64 v[122:123], v[134:135], v[122:123]
	v_fma_f64 v[203:204], v[205:206], s[8:9], -v[201:202]
	v_fma_f64 v[144:145], v[205:206], s[8:9], v[201:202]
	v_add_f64 v[142:143], v[203:204], v[142:143]
	v_mul_f64 v[203:204], v[211:212], s[26:27]
	v_add_f64 v[120:121], v[144:145], v[120:121]
	v_fma_f64 v[144:145], v[235:236], s[2:3], v[219:220]
	v_fma_f64 v[209:210], v[207:208], s[8:9], v[203:204]
	v_fma_f64 v[146:147], v[207:208], s[8:9], -v[203:204]
	v_add_f64 v[140:141], v[209:210], v[140:141]
	v_mul_f64 v[209:210], v[225:226], s[20:21]
	v_add_f64 v[122:123], v[146:147], v[122:123]
	v_fma_f64 v[146:147], v[241:242], s[2:3], -v[221:222]
	v_fma_f64 v[211:212], v[213:214], s[16:17], -v[209:210]
	v_fma_f64 v[132:133], v[213:214], s[16:17], v[209:210]
	v_add_f64 v[142:143], v[211:212], v[142:143]
	v_mul_f64 v[211:212], v[229:230], s[20:21]
	v_add_f64 v[120:121], v[132:133], v[120:121]
	v_fma_f64 v[217:218], v[215:216], s[16:17], v[211:212]
	v_fma_f64 v[134:135], v[215:216], s[16:17], -v[211:212]
	v_add_f64 v[144:145], v[144:145], v[120:121]
	v_add_f64 v[217:218], v[217:218], v[140:141]
	v_fma_f64 v[140:141], v[235:236], s[2:3], -v[219:220]
	v_add_f64 v[122:123], v[134:135], v[122:123]
	v_add_f64 v[140:141], v[140:141], v[142:143]
	v_fma_f64 v[142:143], v[241:242], s[2:3], v[221:222]
	v_add_f64 v[146:147], v[146:147], v[122:123]
	v_add_f64 v[142:143], v[142:143], v[217:218]
	s_and_saveexec_b32 s0, vcc_lo
	s_cbranch_execz .LBB0_11
; %bb.10:
	ds_write_b128 v245, v[100:103]
	ds_write_b128 v245, v[96:99] offset:2288
	ds_write_b128 v245, v[108:111] offset:4576
	;; [unrolled: 1-line block ×12, first 2 shown]
.LBB0_11:
	s_or_b32 exec_lo, exec_lo, s0
	s_waitcnt lgkmcnt(0)
	s_barrier
	buffer_gl0_inv
	s_and_saveexec_b32 s1, vcc_lo
	s_cbranch_execz .LBB0_13
; %bb.12:
	v_add_co_u32 v132, s0, s14, v245
	v_add_co_ci_u32_e64 v133, null, s15, 0, s0
	v_add_co_u32 v120, s0, 0x7000, v132
	v_add_co_ci_u32_e64 v121, s0, 0, v133, s0
	v_add_co_u32 v134, s0, 0x7800, v132
	v_add_co_ci_u32_e64 v135, s0, 0, v133, s0
	s_clause 0x1
	global_load_dwordx4 v[120:123], v[120:121], off offset:1072
	global_load_dwordx4 v[149:152], v[134:135], off offset:1312
	v_add_co_u32 v134, s0, 0x8000, v132
	v_add_co_ci_u32_e64 v135, s0, 0, v133, s0
	global_load_dwordx4 v[153:156], v[134:135], off offset:1552
	v_add_co_u32 v134, s0, 0x8800, v132
	v_add_co_ci_u32_e64 v135, s0, 0, v133, s0
	;; [unrolled: 3-line block ×4, first 2 shown]
	v_add_co_u32 v169, s0, 0xa800, v132
	v_add_co_ci_u32_e64 v170, s0, 0, v133, s0
	s_clause 0x1
	global_load_dwordx4 v[165:168], v[134:135], off offset:224
	global_load_dwordx4 v[169:172], v[169:170], off offset:464
	v_add_co_u32 v134, s0, 0xb000, v132
	v_add_co_ci_u32_e64 v135, s0, 0, v133, s0
	global_load_dwordx4 v[173:176], v[134:135], off offset:704
	v_add_co_u32 v134, s0, 0xb800, v132
	v_add_co_ci_u32_e64 v135, s0, 0, v133, s0
	v_add_co_u32 v181, s0, 0xc000, v132
	v_add_co_ci_u32_e64 v182, s0, 0, v133, s0
	s_clause 0x1
	global_load_dwordx4 v[177:180], v[134:135], off offset:944
	global_load_dwordx4 v[181:184], v[181:182], off offset:1184
	v_add_co_u32 v134, s0, 0xc800, v132
	v_add_co_ci_u32_e64 v135, s0, 0, v133, s0
	global_load_dwordx4 v[185:188], v[134:135], off offset:1424
	v_add_co_u32 v134, s0, 0xd000, v132
	v_add_co_ci_u32_e64 v135, s0, 0, v133, s0
	v_add_co_u32 v189, s0, 0xd800, v132
	v_add_co_ci_u32_e64 v190, s0, 0, v133, s0
	s_clause 0x1
	global_load_dwordx4 v[132:135], v[134:135], off offset:1664
	global_load_dwordx4 v[189:192], v[189:190], off offset:1904
	ds_read_b128 v[193:196], v245
	ds_read_b128 v[197:200], v245 offset:2288
	ds_read_b128 v[201:204], v245 offset:4576
	s_waitcnt vmcnt(12) lgkmcnt(2)
	v_mul_f64 v[205:206], v[195:196], v[122:123]
	v_mul_f64 v[122:123], v[193:194], v[122:123]
	s_waitcnt vmcnt(11) lgkmcnt(1)
	v_mul_f64 v[207:208], v[199:200], v[151:152]
	v_mul_f64 v[151:152], v[197:198], v[151:152]
	v_fma_f64 v[193:194], v[193:194], v[120:121], -v[205:206]
	v_fma_f64 v[195:196], v[195:196], v[120:121], v[122:123]
	ds_read_b128 v[120:123], v245 offset:6864
	s_waitcnt vmcnt(10) lgkmcnt(1)
	v_mul_f64 v[205:206], v[203:204], v[155:156]
	v_mul_f64 v[155:156], v[201:202], v[155:156]
	v_fma_f64 v[197:198], v[197:198], v[149:150], -v[207:208]
	v_fma_f64 v[199:200], v[199:200], v[149:150], v[151:152]
	ds_read_b128 v[149:152], v245 offset:9152
	;; [unrolled: 6-line block ×10, first 2 shown]
	s_waitcnt vmcnt(1) lgkmcnt(1)
	v_mul_f64 v[207:208], v[179:180], v[134:135]
	v_mul_f64 v[134:135], v[177:178], v[134:135]
	v_fma_f64 v[173:174], v[173:174], v[185:186], -v[205:206]
	v_fma_f64 v[175:176], v[175:176], v[185:186], v[187:188]
	s_waitcnt vmcnt(0) lgkmcnt(0)
	v_mul_f64 v[185:186], v[183:184], v[191:192]
	v_mul_f64 v[187:188], v[181:182], v[191:192]
	v_fma_f64 v[177:178], v[177:178], v[132:133], -v[207:208]
	v_fma_f64 v[179:180], v[179:180], v[132:133], v[134:135]
	v_fma_f64 v[132:133], v[181:182], v[189:190], -v[185:186]
	v_fma_f64 v[134:135], v[183:184], v[189:190], v[187:188]
	ds_write_b128 v245, v[193:196]
	ds_write_b128 v245, v[197:200] offset:2288
	ds_write_b128 v245, v[201:204] offset:4576
	;; [unrolled: 1-line block ×12, first 2 shown]
.LBB0_13:
	s_or_b32 exec_lo, exec_lo, s1
	s_waitcnt lgkmcnt(0)
	s_barrier
	buffer_gl0_inv
	s_and_saveexec_b32 s0, vcc_lo
	s_cbranch_execz .LBB0_15
; %bb.14:
	ds_read_b128 v[100:103], v245
	ds_read_b128 v[96:99], v245 offset:2288
	ds_read_b128 v[108:111], v245 offset:4576
	;; [unrolled: 1-line block ×12, first 2 shown]
.LBB0_15:
	s_or_b32 exec_lo, exec_lo, s0
	s_waitcnt lgkmcnt(0)
	v_add_f64 v[177:178], v[98:99], -v[90:91]
	s_mov_b32 s26, 0x4267c47c
	s_mov_b32 s27, 0xbfddbe06
	v_add_f64 v[175:176], v[96:97], v[88:89]
	v_add_f64 v[153:154], v[110:111], -v[94:95]
	v_add_f64 v[201:202], v[98:99], v[90:91]
	s_mov_b32 s2, 0xe00740e9
	s_mov_b32 s8, 0x42a4c3d2
	;; [unrolled: 1-line block ×4, first 2 shown]
	v_add_f64 v[149:150], v[108:109], v[92:93]
	v_add_f64 v[205:206], v[96:97], -v[88:89]
	v_add_f64 v[151:152], v[110:111], v[94:95]
	s_mov_b32 s0, 0x1ea71119
	s_mov_b32 s1, 0x3fe22d96
	v_add_f64 v[155:156], v[108:109], -v[92:93]
	v_add_f64 v[161:162], v[118:119], -v[106:107]
	s_mov_b32 s20, 0x66966769
	s_mov_b32 s21, 0xbfefc445
	v_add_f64 v[157:158], v[116:117], v[104:105]
	v_add_f64 v[159:160], v[118:119], v[106:107]
	s_mov_b32 s16, 0xebaa3ed8
	v_mul_f64 v[203:204], v[177:178], s[26:27]
	s_mov_b32 s17, 0x3fbedb7d
	v_add_f64 v[163:164], v[116:117], -v[104:105]
	v_add_f64 v[169:170], v[126:127], -v[114:115]
	v_mul_f64 v[173:174], v[153:154], s[8:9]
	v_mul_f64 v[207:208], v[201:202], s[2:3]
	s_mov_b32 s23, 0xbfedeba7
	s_mov_b32 s22, 0x2ef20147
	v_add_f64 v[165:166], v[124:125], v[112:113]
	v_add_f64 v[167:168], v[126:127], v[114:115]
	s_mov_b32 s10, 0xb2365da1
	s_mov_b32 s11, 0xbfd6b1d8
	v_mul_f64 v[179:180], v[151:152], s[0:1]
	v_add_f64 v[171:172], v[124:125], -v[112:113]
	v_add_f64 v[183:184], v[138:139], -v[130:131]
	s_mov_b32 s28, 0x24c2f84
	v_mul_f64 v[197:198], v[161:162], s[20:21]
	s_mov_b32 s29, 0x3fe5384d
	s_mov_b32 s35, 0xbfe5384d
	;; [unrolled: 1-line block ×3, first 2 shown]
	v_mul_f64 v[199:200], v[159:160], s[16:17]
	v_add_f64 v[181:182], v[136:137], v[128:129]
	v_fma_f64 v[120:121], v[175:176], s[2:3], -v[203:204]
	v_add_f64 v[185:186], v[138:139], v[130:131]
	v_add_f64 v[187:188], v[136:137], -v[128:129]
	v_mul_f64 v[209:210], v[169:170], s[22:23]
	v_fma_f64 v[122:123], v[149:150], s[0:1], -v[173:174]
	v_fma_f64 v[132:133], v[205:206], s[26:27], v[207:208]
	v_add_f64 v[191:192], v[142:143], -v[146:147]
	s_mov_b32 s30, 0x4bc48dbf
	s_mov_b32 s31, 0xbfcea1e5
	v_mul_f64 v[211:212], v[167:168], s[10:11]
	v_add_f64 v[189:190], v[140:141], v[144:145]
	v_add_f64 v[193:194], v[142:143], v[146:147]
	s_mov_b32 s24, 0x93053d00
	s_mov_b32 s25, 0xbfef11f4
	v_mul_f64 v[213:214], v[183:184], s[34:35]
	v_add_f64 v[195:196], v[140:141], -v[144:145]
	v_mul_f64 v[241:242], v[177:178], s[8:9]
	v_mul_f64 v[219:220], v[153:154], s[22:23]
	;; [unrolled: 1-line block ×6, first 2 shown]
	v_add_f64 v[120:121], v[100:101], v[120:121]
	v_mul_f64 v[215:216], v[185:186], s[18:19]
	s_mov_b32 s39, 0x3fefc445
	s_mov_b32 s38, s20
	;; [unrolled: 1-line block ×4, first 2 shown]
	v_mul_f64 v[217:218], v[191:192], s[30:31]
	s_barrier
	buffer_gl0_inv
	v_mul_f64 v[223:224], v[193:194], s[24:25]
	v_fma_f64 v[134:135], v[149:150], s[10:11], -v[219:220]
	v_fma_f64 v[221:222], v[155:156], s[22:23], v[227:228]
	v_add_f64 v[120:121], v[122:123], v[120:121]
	v_add_f64 v[122:123], v[102:103], v[132:133]
	v_fma_f64 v[132:133], v[155:156], s[8:9], v[179:180]
	v_add_f64 v[122:123], v[132:133], v[122:123]
	v_fma_f64 v[132:133], v[157:158], s[16:17], -v[197:198]
	v_add_f64 v[120:121], v[132:133], v[120:121]
	v_fma_f64 v[132:133], v[163:164], s[20:21], v[199:200]
	v_add_f64 v[122:123], v[132:133], v[122:123]
	v_fma_f64 v[132:133], v[165:166], s[10:11], -v[209:210]
	;; [unrolled: 4-line block ×5, first 2 shown]
	v_add_f64 v[132:133], v[100:101], v[132:133]
	v_add_f64 v[132:133], v[134:135], v[132:133]
	v_fma_f64 v[134:135], v[205:206], s[8:9], v[243:244]
	v_add_f64 v[134:135], v[102:103], v[134:135]
	v_add_f64 v[134:135], v[221:222], v[134:135]
	v_mul_f64 v[221:222], v[161:162], s[30:31]
	v_fma_f64 v[225:226], v[157:158], s[24:25], -v[221:222]
	v_add_f64 v[132:133], v[225:226], v[132:133]
	v_fma_f64 v[225:226], v[163:164], s[30:31], v[231:232]
	v_add_f64 v[134:135], v[225:226], v[134:135]
	v_mul_f64 v[225:226], v[169:170], s[28:29]
	v_fma_f64 v[229:230], v[165:166], s[18:19], -v[225:226]
	v_add_f64 v[132:133], v[229:230], v[132:133]
	v_fma_f64 v[229:230], v[171:172], s[28:29], v[233:234]
	v_add_f64 v[134:135], v[229:230], v[134:135]
	v_mul_f64 v[229:230], v[183:184], s[38:39]
	v_fma_f64 v[235:236], v[181:182], s[16:17], -v[229:230]
	v_add_f64 v[132:133], v[235:236], v[132:133]
	v_mul_f64 v[235:236], v[185:186], s[16:17]
	v_fma_f64 v[237:238], v[187:188], s[38:39], v[235:236]
	v_add_f64 v[134:135], v[237:238], v[134:135]
	v_mul_f64 v[237:238], v[191:192], s[36:37]
	v_fma_f64 v[239:240], v[189:190], s[2:3], -v[237:238]
	v_add_f64 v[132:133], v[239:240], v[132:133]
	v_mul_f64 v[239:240], v[193:194], s[2:3]
	v_fma_f64 v[249:250], v[195:196], s[36:37], v[239:240]
	v_add_f64 v[134:135], v[249:250], v[134:135]
	s_and_saveexec_b32 s33, vcc_lo
	s_cbranch_execz .LBB0_17
; %bb.16:
	v_add_f64 v[96:97], v[100:101], v[96:97]
	v_add_f64 v[98:99], v[102:103], v[98:99]
	;; [unrolled: 1-line block ×4, first 2 shown]
	v_mul_f64 v[108:109], v[205:206], s[22:23]
	v_mul_f64 v[110:111], v[205:206], s[20:21]
	v_add_f64 v[96:97], v[96:97], v[116:117]
	v_add_f64 v[98:99], v[98:99], v[118:119]
	v_fma_f64 v[116:117], v[201:202], s[10:11], v[108:109]
	v_fma_f64 v[108:109], v[201:202], s[10:11], -v[108:109]
	v_fma_f64 v[118:119], v[201:202], s[16:17], -v[110:111]
	v_fma_f64 v[110:111], v[201:202], s[16:17], v[110:111]
	v_add_f64 v[96:97], v[96:97], v[124:125]
	v_add_f64 v[98:99], v[98:99], v[126:127]
	v_mul_f64 v[124:125], v[177:178], s[30:31]
	v_mul_f64 v[126:127], v[177:178], s[34:35]
	v_add_f64 v[116:117], v[102:103], v[116:117]
	v_add_f64 v[96:97], v[96:97], v[136:137]
	;; [unrolled: 1-line block ×3, first 2 shown]
	v_fma_f64 v[136:137], v[175:176], s[24:25], -v[124:125]
	v_fma_f64 v[124:125], v[175:176], s[24:25], v[124:125]
	v_fma_f64 v[138:139], v[175:176], s[18:19], -v[126:127]
	v_fma_f64 v[126:127], v[175:176], s[18:19], v[126:127]
	v_add_f64 v[96:97], v[96:97], v[140:141]
	v_add_f64 v[98:99], v[98:99], v[142:143]
	;; [unrolled: 1-line block ×12, first 2 shown]
	v_mul_f64 v[128:129], v[177:178], s[22:23]
	v_mul_f64 v[130:131], v[177:178], s[20:21]
	v_add_f64 v[96:97], v[96:97], v[112:113]
	v_add_f64 v[98:99], v[98:99], v[114:115]
	v_fma_f64 v[140:141], v[175:176], s[10:11], -v[128:129]
	v_fma_f64 v[128:129], v[175:176], s[10:11], v[128:129]
	v_fma_f64 v[142:143], v[175:176], s[16:17], v[130:131]
	v_fma_f64 v[130:131], v[175:176], s[16:17], -v[130:131]
	v_add_f64 v[96:97], v[96:97], v[104:105]
	v_add_f64 v[98:99], v[98:99], v[106:107]
	v_mul_f64 v[104:105], v[205:206], s[30:31]
	v_mul_f64 v[106:107], v[205:206], s[34:35]
	v_add_f64 v[140:141], v[100:101], v[140:141]
	v_add_f64 v[142:143], v[100:101], v[142:143]
	;; [unrolled: 1-line block ×5, first 2 shown]
	v_mul_f64 v[96:97], v[175:176], s[2:3]
	v_add_f64 v[94:95], v[98:99], v[94:95]
	v_mul_f64 v[98:99], v[175:176], s[0:1]
	v_fma_f64 v[112:113], v[201:202], s[24:25], v[104:105]
	v_fma_f64 v[114:115], v[201:202], s[18:19], v[106:107]
	v_fma_f64 v[106:107], v[201:202], s[18:19], -v[106:107]
	v_fma_f64 v[104:105], v[201:202], s[24:25], -v[104:105]
	v_add_f64 v[201:202], v[102:103], v[110:111]
	v_add_f64 v[88:89], v[92:93], v[88:89]
	v_mul_f64 v[92:93], v[205:206], s[8:9]
	v_add_f64 v[96:97], v[96:97], v[203:204]
	v_add_f64 v[90:91], v[94:95], v[90:91]
	v_mul_f64 v[94:95], v[205:206], s[26:27]
	v_add_f64 v[98:99], v[98:99], v[241:242]
	v_add_f64 v[112:113], v[102:103], v[112:113]
	;; [unrolled: 1-line block ×5, first 2 shown]
	s_mov_b32 s27, 0x3fea55e2
	s_mov_b32 s26, s8
	v_mul_f64 v[241:242], v[191:192], s[38:39]
	v_add_f64 v[92:93], v[243:244], -v[92:93]
	v_add_f64 v[175:176], v[100:101], v[96:97]
	v_mul_f64 v[96:97], v[155:156], s[36:37]
	v_add_f64 v[94:95], v[207:208], -v[94:95]
	v_add_f64 v[177:178], v[100:101], v[98:99]
	v_mul_f64 v[100:101], v[163:164], s[34:35]
	v_mul_f64 v[98:99], v[153:154], s[36:37]
	;; [unrolled: 1-line block ×3, first 2 shown]
	v_add_f64 v[106:107], v[102:103], v[92:93]
	v_fma_f64 v[92:93], v[151:152], s[2:3], v[96:97]
	v_add_f64 v[118:119], v[102:103], v[94:95]
	v_fma_f64 v[96:97], v[151:152], s[2:3], -v[96:97]
	v_fma_f64 v[102:103], v[159:160], s[18:19], v[100:101]
	v_fma_f64 v[94:95], v[149:150], s[2:3], -v[98:99]
	v_fma_f64 v[98:99], v[149:150], s[2:3], v[98:99]
	v_fma_f64 v[100:101], v[159:160], s[18:19], -v[100:101]
	v_add_f64 v[92:93], v[92:93], v[112:113]
	v_add_f64 v[96:97], v[96:97], v[104:105]
	v_mul_f64 v[104:105], v[163:164], s[20:21]
	v_add_f64 v[94:95], v[94:95], v[136:137]
	v_add_f64 v[98:99], v[98:99], v[124:125]
	v_mul_f64 v[124:125], v[165:166], s[10:11]
	v_add_f64 v[92:93], v[102:103], v[92:93]
	v_mul_f64 v[102:103], v[161:162], s[34:35]
	v_add_f64 v[96:97], v[100:101], v[96:97]
	v_add_f64 v[104:105], v[199:200], -v[104:105]
	v_add_f64 v[124:125], v[124:125], v[209:210]
	v_fma_f64 v[110:111], v[157:158], s[18:19], -v[102:103]
	v_fma_f64 v[100:101], v[157:158], s[18:19], v[102:103]
	v_fma_f64 v[102:103], v[189:190], s[16:17], v[241:242]
	v_add_f64 v[94:95], v[110:111], v[94:95]
	v_mul_f64 v[110:111], v[171:172], s[26:27]
	v_add_f64 v[98:99], v[100:101], v[98:99]
	v_fma_f64 v[112:113], v[167:168], s[0:1], v[110:111]
	v_fma_f64 v[100:101], v[167:168], s[0:1], -v[110:111]
	v_mul_f64 v[110:111], v[157:158], s[16:17]
	v_add_f64 v[92:93], v[112:113], v[92:93]
	v_mul_f64 v[112:113], v[169:170], s[26:27]
	v_add_f64 v[96:97], v[100:101], v[96:97]
	v_add_f64 v[110:111], v[110:111], v[197:198]
	v_fma_f64 v[136:137], v[165:166], s[0:1], -v[112:113]
	v_fma_f64 v[100:101], v[165:166], s[0:1], v[112:113]
	v_mul_f64 v[112:113], v[171:172], s[22:23]
	v_add_f64 v[94:95], v[136:137], v[94:95]
	v_mul_f64 v[136:137], v[187:188], s[22:23]
	v_add_f64 v[98:99], v[100:101], v[98:99]
	v_add_f64 v[112:113], v[211:212], -v[112:113]
	v_fma_f64 v[203:204], v[185:186], s[10:11], v[136:137]
	v_fma_f64 v[100:101], v[185:186], s[10:11], -v[136:137]
	v_mul_f64 v[136:137], v[187:188], s[34:35]
	v_add_f64 v[92:93], v[203:204], v[92:93]
	v_mul_f64 v[203:204], v[183:184], s[22:23]
	v_add_f64 v[96:97], v[100:101], v[96:97]
	v_add_f64 v[136:137], v[215:216], -v[136:137]
	v_fma_f64 v[100:101], v[181:182], s[10:11], v[203:204]
	v_fma_f64 v[205:206], v[181:182], s[10:11], -v[203:204]
	v_mul_f64 v[203:204], v[195:196], s[34:35]
	v_add_f64 v[100:101], v[100:101], v[98:99]
	v_fma_f64 v[98:99], v[193:194], s[16:17], -v[207:208]
	v_add_f64 v[205:206], v[205:206], v[94:95]
	v_fma_f64 v[94:95], v[193:194], s[16:17], v[207:208]
	v_add_f64 v[98:99], v[98:99], v[96:97]
	v_add_f64 v[96:97], v[102:103], v[100:101]
	v_mul_f64 v[100:101], v[155:156], s[8:9]
	v_mul_f64 v[102:103], v[149:150], s[0:1]
	v_add_f64 v[94:95], v[94:95], v[92:93]
	v_fma_f64 v[92:93], v[189:190], s[16:17], -v[241:242]
	v_add_f64 v[100:101], v[179:180], -v[100:101]
	v_add_f64 v[102:103], v[102:103], v[173:174]
	v_mul_f64 v[173:174], v[187:188], s[38:39]
	v_add_f64 v[92:93], v[92:93], v[205:206]
	v_mul_f64 v[205:206], v[191:192], s[34:35]
	v_add_f64 v[100:101], v[100:101], v[118:119]
	v_add_f64 v[102:103], v[102:103], v[175:176]
	v_mul_f64 v[118:119], v[181:182], s[18:19]
	v_add_f64 v[173:174], v[235:236], -v[173:174]
	v_add_f64 v[100:101], v[104:105], v[100:101]
	v_add_f64 v[102:103], v[110:111], v[102:103]
	v_mul_f64 v[104:105], v[195:196], s[30:31]
	v_add_f64 v[118:119], v[118:119], v[213:214]
	v_mul_f64 v[110:111], v[189:190], s[24:25]
	v_add_f64 v[100:101], v[112:113], v[100:101]
	v_add_f64 v[102:103], v[124:125], v[102:103]
	v_add_f64 v[104:105], v[223:224], -v[104:105]
	v_mul_f64 v[124:125], v[171:172], s[28:29]
	v_add_f64 v[110:111], v[110:111], v[217:218]
	v_add_f64 v[100:101], v[136:137], v[100:101]
	;; [unrolled: 1-line block ×3, first 2 shown]
	v_mul_f64 v[118:119], v[157:158], s[24:25]
	v_add_f64 v[124:125], v[233:234], -v[124:125]
	v_mul_f64 v[136:137], v[165:166], s[18:19]
	v_add_f64 v[102:103], v[104:105], v[100:101]
	v_mul_f64 v[104:105], v[155:156], s[22:23]
	v_add_f64 v[100:101], v[110:111], v[112:113]
	v_mul_f64 v[110:111], v[149:150], s[10:11]
	v_mul_f64 v[112:113], v[163:164], s[30:31]
	v_add_f64 v[118:119], v[118:119], v[221:222]
	v_add_f64 v[136:137], v[136:137], v[225:226]
	v_add_f64 v[104:105], v[227:228], -v[104:105]
	v_add_f64 v[110:111], v[110:111], v[219:220]
	v_add_f64 v[112:113], v[231:232], -v[112:113]
	v_add_f64 v[104:105], v[104:105], v[106:107]
	v_add_f64 v[106:107], v[110:111], v[177:178]
	v_mul_f64 v[110:111], v[181:182], s[16:17]
	v_add_f64 v[104:105], v[112:113], v[104:105]
	v_mul_f64 v[112:113], v[195:196], s[36:37]
	v_add_f64 v[106:107], v[118:119], v[106:107]
	v_add_f64 v[110:111], v[110:111], v[229:230]
	v_mul_f64 v[118:119], v[189:190], s[2:3]
	v_add_f64 v[104:105], v[124:125], v[104:105]
	v_add_f64 v[112:113], v[239:240], -v[112:113]
	v_add_f64 v[106:107], v[136:137], v[106:107]
	v_mul_f64 v[124:125], v[195:196], s[22:23]
	v_add_f64 v[118:119], v[118:119], v[237:238]
	v_mul_f64 v[136:137], v[191:192], s[22:23]
	s_mov_b32 s23, 0x3fedeba7
	v_add_f64 v[104:105], v[173:174], v[104:105]
	v_add_f64 v[110:111], v[110:111], v[106:107]
	;; [unrolled: 1-line block ×3, first 2 shown]
	v_mul_f64 v[112:113], v[155:156], s[30:31]
	v_add_f64 v[104:105], v[118:119], v[110:111]
	v_mul_f64 v[118:119], v[153:154], s[30:31]
	s_mov_b32 s31, 0x3fcea1e5
	v_fma_f64 v[110:111], v[151:152], s[24:25], -v[112:113]
	v_fma_f64 v[112:113], v[151:152], s[24:25], v[112:113]
	v_add_f64 v[108:109], v[110:111], v[108:109]
	v_fma_f64 v[110:111], v[149:150], s[24:25], v[118:119]
	v_fma_f64 v[118:119], v[149:150], s[24:25], -v[118:119]
	v_add_f64 v[112:113], v[112:113], v[201:202]
	v_add_f64 v[110:111], v[110:111], v[142:143]
	v_mul_f64 v[142:143], v[163:164], s[22:23]
	v_add_f64 v[118:119], v[118:119], v[130:131]
	v_fma_f64 v[173:174], v[159:160], s[10:11], -v[142:143]
	v_fma_f64 v[142:143], v[159:160], s[10:11], v[142:143]
	v_add_f64 v[108:109], v[173:174], v[108:109]
	v_mul_f64 v[173:174], v[161:162], s[22:23]
	v_add_f64 v[112:113], v[142:143], v[112:113]
	v_fma_f64 v[175:176], v[157:158], s[10:11], v[173:174]
	v_add_f64 v[110:111], v[175:176], v[110:111]
	v_mul_f64 v[175:176], v[171:172], s[36:37]
	v_fma_f64 v[177:178], v[167:168], s[2:3], -v[175:176]
	v_add_f64 v[108:109], v[177:178], v[108:109]
	v_mul_f64 v[177:178], v[169:170], s[36:37]
	v_fma_f64 v[179:180], v[165:166], s[2:3], v[177:178]
	v_fma_f64 v[142:143], v[165:166], s[2:3], -v[177:178]
	v_add_f64 v[110:111], v[179:180], v[110:111]
	v_mul_f64 v[179:180], v[187:188], s[8:9]
	v_fma_f64 v[197:198], v[185:186], s[0:1], -v[179:180]
	v_add_f64 v[108:109], v[197:198], v[108:109]
	v_mul_f64 v[197:198], v[183:184], s[8:9]
	v_fma_f64 v[199:200], v[181:182], s[0:1], v[197:198]
	v_add_f64 v[199:200], v[199:200], v[110:111]
	v_fma_f64 v[110:111], v[193:194], s[18:19], -v[203:204]
	v_add_f64 v[110:111], v[110:111], v[108:109]
	v_fma_f64 v[108:109], v[189:190], s[18:19], v[205:206]
	v_add_f64 v[108:109], v[108:109], v[199:200]
	v_mul_f64 v[199:200], v[155:156], s[28:29]
	v_mul_f64 v[155:156], v[155:156], s[38:39]
	v_fma_f64 v[207:208], v[151:152], s[18:19], -v[199:200]
	v_add_f64 v[146:147], v[207:208], v[146:147]
	v_mul_f64 v[207:208], v[153:154], s[28:29]
	v_mul_f64 v[153:154], v[153:154], s[38:39]
	v_fma_f64 v[209:210], v[149:150], s[18:19], v[207:208]
	v_add_f64 v[128:129], v[209:210], v[128:129]
	v_mul_f64 v[209:210], v[163:164], s[36:37]
	v_fma_f64 v[211:212], v[159:160], s[2:3], -v[209:210]
	v_add_f64 v[146:147], v[211:212], v[146:147]
	v_mul_f64 v[211:212], v[161:162], s[36:37]
	v_fma_f64 v[213:214], v[157:158], s[2:3], v[211:212]
	v_add_f64 v[128:129], v[213:214], v[128:129]
	v_mul_f64 v[213:214], v[171:172], s[20:21]
	v_fma_f64 v[215:216], v[167:168], s[16:17], -v[213:214]
	v_add_f64 v[146:147], v[215:216], v[146:147]
	v_mul_f64 v[215:216], v[169:170], s[20:21]
	v_fma_f64 v[217:218], v[165:166], s[16:17], v[215:216]
	v_fma_f64 v[130:131], v[165:166], s[16:17], -v[215:216]
	v_add_f64 v[128:129], v[217:218], v[128:129]
	v_mul_f64 v[217:218], v[187:188], s[30:31]
	v_fma_f64 v[219:220], v[185:186], s[24:25], -v[217:218]
	v_add_f64 v[146:147], v[219:220], v[146:147]
	v_mul_f64 v[219:220], v[183:184], s[30:31]
	v_fma_f64 v[221:222], v[181:182], s[24:25], v[219:220]
	v_add_f64 v[128:129], v[221:222], v[128:129]
	v_fma_f64 v[221:222], v[151:152], s[16:17], v[155:156]
	v_fma_f64 v[155:156], v[151:152], s[16:17], -v[155:156]
	v_add_f64 v[114:115], v[221:222], v[114:115]
	v_fma_f64 v[221:222], v[149:150], s[16:17], -v[153:154]
	v_fma_f64 v[153:154], v[149:150], s[16:17], v[153:154]
	v_add_f64 v[144:145], v[155:156], v[144:145]
	v_mul_f64 v[155:156], v[163:164], s[8:9]
	v_add_f64 v[138:139], v[221:222], v[138:139]
	v_add_f64 v[126:127], v[153:154], v[126:127]
	v_fma_f64 v[153:154], v[151:152], s[18:19], v[199:200]
	v_fma_f64 v[163:164], v[159:160], s[0:1], v[155:156]
	v_fma_f64 v[155:156], v[159:160], s[0:1], -v[155:156]
	v_add_f64 v[116:117], v[153:154], v[116:117]
	v_mul_f64 v[153:154], v[161:162], s[8:9]
	v_add_f64 v[114:115], v[163:164], v[114:115]
	v_add_f64 v[144:145], v[155:156], v[144:145]
	v_fma_f64 v[161:162], v[157:158], s[0:1], -v[153:154]
	v_fma_f64 v[153:154], v[157:158], s[0:1], v[153:154]
	v_add_f64 v[138:139], v[161:162], v[138:139]
	v_add_f64 v[126:127], v[153:154], v[126:127]
	v_fma_f64 v[153:154], v[159:160], s[2:3], v[209:210]
	v_mul_f64 v[161:162], v[171:172], s[30:31]
	v_fma_f64 v[159:160], v[181:182], s[24:25], -v[219:220]
	v_add_f64 v[116:117], v[153:154], v[116:117]
	v_fma_f64 v[153:154], v[149:150], s[18:19], -v[207:208]
	v_fma_f64 v[149:150], v[157:158], s[2:3], -v[211:212]
	v_fma_f64 v[163:164], v[167:168], s[24:25], v[161:162]
	v_add_f64 v[140:141], v[153:154], v[140:141]
	v_mul_f64 v[153:154], v[169:170], s[30:31]
	v_add_f64 v[114:115], v[163:164], v[114:115]
	v_fma_f64 v[163:164], v[189:190], s[18:19], -v[205:206]
	v_add_f64 v[140:141], v[149:150], v[140:141]
	v_fma_f64 v[149:150], v[157:158], s[10:11], -v[173:174]
	v_fma_f64 v[155:156], v[165:166], s[24:25], -v[153:154]
	v_fma_f64 v[153:154], v[165:166], s[24:25], v[153:154]
	v_add_f64 v[130:131], v[130:131], v[140:141]
	v_fma_f64 v[140:141], v[167:168], s[2:3], v[175:176]
	v_add_f64 v[118:119], v[149:150], v[118:119]
	v_mul_f64 v[149:150], v[187:188], s[36:37]
	v_add_f64 v[138:139], v[155:156], v[138:139]
	v_fma_f64 v[155:156], v[167:168], s[24:25], -v[161:162]
	v_add_f64 v[126:127], v[153:154], v[126:127]
	v_fma_f64 v[153:154], v[167:168], s[16:17], v[213:214]
	v_fma_f64 v[161:162], v[181:182], s[0:1], -v[197:198]
	v_add_f64 v[112:113], v[140:141], v[112:113]
	v_mul_f64 v[140:141], v[183:184], s[36:37]
	v_fma_f64 v[151:152], v[185:186], s[2:3], v[149:150]
	v_add_f64 v[118:119], v[142:143], v[118:119]
	v_add_f64 v[144:145], v[155:156], v[144:145]
	v_fma_f64 v[155:156], v[185:186], s[0:1], v[179:180]
	v_add_f64 v[116:117], v[153:154], v[116:117]
	v_fma_f64 v[149:150], v[185:186], s[2:3], -v[149:150]
	v_fma_f64 v[153:154], v[185:186], s[24:25], v[217:218]
	v_fma_f64 v[157:158], v[181:182], s[2:3], -v[140:141]
	v_fma_f64 v[140:141], v[181:182], s[2:3], v[140:141]
	v_add_f64 v[142:143], v[151:152], v[114:115]
	v_mul_f64 v[114:115], v[195:196], s[26:27]
	v_add_f64 v[151:152], v[159:160], v[130:131]
	v_add_f64 v[155:156], v[155:156], v[112:113]
	;; [unrolled: 1-line block ×4, first 2 shown]
	v_fma_f64 v[116:117], v[193:194], s[10:11], v[124:125]
	v_fma_f64 v[124:125], v[193:194], s[10:11], -v[124:125]
	v_fma_f64 v[153:154], v[193:194], s[18:19], v[203:204]
	v_add_f64 v[161:162], v[161:162], v[118:119]
	v_add_f64 v[138:139], v[157:158], v[138:139]
	;; [unrolled: 1-line block ×3, first 2 shown]
	v_fma_f64 v[157:158], v[189:190], s[10:11], v[136:137]
	v_fma_f64 v[126:127], v[193:194], s[0:1], -v[114:115]
	v_fma_f64 v[130:131], v[193:194], s[0:1], v[114:115]
	v_mul_f64 v[114:115], v[191:192], s[26:27]
	v_fma_f64 v[136:137], v[189:190], s[10:11], -v[136:137]
	v_add_f64 v[118:119], v[116:117], v[142:143]
	v_add_f64 v[130:131], v[130:131], v[149:150]
	v_fma_f64 v[112:113], v[189:190], s[0:1], v[114:115]
	v_fma_f64 v[159:160], v[189:190], s[0:1], -v[114:115]
	v_add_f64 v[114:115], v[126:127], v[146:147]
	v_add_f64 v[126:127], v[124:125], v[144:145]
	;; [unrolled: 1-line block ×6, first 2 shown]
	v_mov_b32_e32 v140, 4
	v_lshlrev_b32_sdwa v140, v140, v247 dst_sel:DWORD dst_unused:UNUSED_PAD src0_sel:DWORD src1_sel:WORD_0
	v_add_f64 v[112:113], v[112:113], v[128:129]
	v_add_f64 v[128:129], v[159:160], v[151:152]
	ds_write_b128 v140, v[88:91]
	ds_write_b128 v140, v[100:103] offset:16
	ds_write_b128 v140, v[104:107] offset:32
	;; [unrolled: 1-line block ×12, first 2 shown]
.LBB0_17:
	s_or_b32 exec_lo, exec_lo, s33
	s_waitcnt lgkmcnt(0)
	s_barrier
	buffer_gl0_inv
	ds_read_b128 v[92:95], v245 offset:2704
	ds_read_b128 v[88:91], v245
	ds_read_b128 v[96:99], v245 offset:5408
	ds_read_b128 v[100:103], v245 offset:8112
	ds_read_b128 v[104:107], v245 offset:10816
	ds_read_b128 v[108:111], v245 offset:13520
	ds_read_b128 v[112:115], v245 offset:16224
	ds_read_b128 v[116:119], v245 offset:18928
	ds_read_b128 v[124:127], v245 offset:21632
	ds_read_b128 v[128:131], v245 offset:24336
	ds_read_b128 v[136:139], v245 offset:27040
	s_mov_b32 s2, 0xf8bb580b
	s_mov_b32 s8, 0x8764f0ba
	;; [unrolled: 1-line block ×9, first 2 shown]
	s_waitcnt lgkmcnt(10)
	v_mul_f64 v[140:141], v[30:31], v[94:95]
	v_mul_f64 v[30:31], v[30:31], v[92:93]
	s_waitcnt lgkmcnt(8)
	v_mul_f64 v[144:145], v[18:19], v[98:99]
	v_mul_f64 v[18:19], v[18:19], v[96:97]
	;; [unrolled: 3-line block ×3, first 2 shown]
	s_mov_b32 s28, 0x7f775887
	s_waitcnt lgkmcnt(3)
	v_mul_f64 v[153:154], v[22:23], v[118:119]
	s_waitcnt lgkmcnt(2)
	v_mul_f64 v[146:147], v[26:27], v[126:127]
	v_mul_f64 v[26:27], v[26:27], v[124:125]
	s_waitcnt lgkmcnt(0)
	v_mul_f64 v[142:143], v[38:39], v[136:137]
	v_mul_f64 v[22:23], v[22:23], v[116:117]
	s_mov_b32 s30, 0xfd768dbf
	s_mov_b32 s36, 0x9bcd5057
	;; [unrolled: 1-line block ×10, first 2 shown]
	v_fma_f64 v[92:93], v[28:29], v[92:93], v[140:141]
	v_fma_f64 v[28:29], v[28:29], v[94:95], -v[30:31]
	v_mul_f64 v[30:31], v[38:39], v[138:139]
	v_mul_f64 v[38:39], v[34:35], v[130:131]
	;; [unrolled: 1-line block ×5, first 2 shown]
	v_fma_f64 v[96:97], v[16:17], v[96:97], v[144:145]
	v_fma_f64 v[16:17], v[16:17], v[98:99], -v[18:19]
	s_mov_b32 s37, 0xbfeeb42a
	v_fma_f64 v[2:3], v[36:37], v[138:139], -v[142:143]
	v_mul_f64 v[138:139], v[14:15], v[110:111]
	v_mul_f64 v[14:15], v[14:15], v[108:109]
	;; [unrolled: 1-line block ×4, first 2 shown]
	s_mov_b32 s0, s2
	s_mov_b32 s17, 0x3fed1bb4
	;; [unrolled: 1-line block ×7, first 2 shown]
	v_add_f64 v[18:19], v[88:89], v[92:93]
	v_add_f64 v[98:99], v[90:91], v[28:29]
	v_fma_f64 v[6:7], v[36:37], v[136:137], v[30:31]
	v_fma_f64 v[30:31], v[32:33], v[128:129], v[38:39]
	v_fma_f64 v[32:33], v[32:33], v[130:131], -v[34:35]
	v_fma_f64 v[34:35], v[4:5], v[100:101], v[94:95]
	v_fma_f64 v[4:5], v[4:5], v[102:103], -v[140:141]
	;; [unrolled: 2-line block ×6, first 2 shown]
	v_add_f64 v[22:23], v[28:29], -v[2:3]
	v_add_f64 v[28:29], v[28:29], v[2:3]
	v_fma_f64 v[14:15], v[8:9], v[112:113], v[142:143]
	v_fma_f64 v[8:9], v[8:9], v[114:115], -v[10:11]
	s_mov_b32 s34, s24
	s_mov_b32 s38, s30
	v_add_f64 v[18:19], v[18:19], v[96:97]
	v_add_f64 v[98:99], v[98:99], v[16:17]
	;; [unrolled: 1-line block ×3, first 2 shown]
	v_add_f64 v[92:93], v[92:93], -v[6:7]
	v_add_f64 v[102:103], v[16:17], -v[32:33]
	v_add_f64 v[16:17], v[16:17], v[32:33]
	v_add_f64 v[100:101], v[96:97], v[30:31]
	v_add_f64 v[96:97], v[96:97], -v[30:31]
	v_add_f64 v[106:107], v[4:5], v[24:25]
	v_add_f64 v[110:111], v[4:5], -v[24:25]
	;; [unrolled: 2-line block ×4, first 2 shown]
	v_add_f64 v[112:113], v[26:27], v[38:39]
	v_mul_f64 v[118:119], v[22:23], s[2:3]
	v_mul_f64 v[124:125], v[28:29], s[8:9]
	;; [unrolled: 1-line block ×6, first 2 shown]
	s_barrier
	v_add_f64 v[18:19], v[18:19], v[34:35]
	v_add_f64 v[4:5], v[98:99], v[4:5]
	v_mul_f64 v[34:35], v[22:23], s[20:21]
	v_mul_f64 v[98:99], v[28:29], s[22:23]
	;; [unrolled: 1-line block ×13, first 2 shown]
	v_fma_f64 v[169:170], v[10:11], s[8:9], v[118:119]
	v_fma_f64 v[171:172], v[92:93], s[0:1], v[124:125]
	v_mul_f64 v[16:17], v[16:17], s[8:9]
	v_mul_f64 v[155:156], v[110:111], s[20:21]
	;; [unrolled: 1-line block ×3, first 2 shown]
	v_fma_f64 v[118:119], v[10:11], s[8:9], -v[118:119]
	v_fma_f64 v[124:125], v[92:93], s[2:3], v[124:125]
	v_add_f64 v[18:19], v[18:19], v[26:27]
	v_add_f64 v[0:1], v[4:5], v[0:1]
	v_fma_f64 v[173:174], v[10:11], s[18:19], v[126:127]
	v_fma_f64 v[175:176], v[92:93], s[16:17], v[128:129]
	v_fma_f64 v[126:127], v[10:11], s[18:19], -v[126:127]
	v_fma_f64 v[128:129], v[92:93], s[10:11], v[128:129]
	v_fma_f64 v[177:178], v[10:11], s[22:23], v[34:35]
	v_fma_f64 v[179:180], v[92:93], s[26:27], v[98:99]
	v_fma_f64 v[34:35], v[10:11], s[22:23], -v[34:35]
	v_fma_f64 v[98:99], v[92:93], s[20:21], v[98:99]
	;; [unrolled: 4-line block ×4, first 2 shown]
	v_fma_f64 v[28:29], v[100:101], s[18:19], v[138:139]
	v_fma_f64 v[92:93], v[96:97], s[16:17], v[140:141]
	v_add_f64 v[169:170], v[88:89], v[169:170]
	v_add_f64 v[171:172], v[90:91], v[171:172]
	;; [unrolled: 1-line block ×4, first 2 shown]
	v_mul_f64 v[159:160], v[110:111], s[38:39]
	v_mul_f64 v[4:5], v[110:111], s[16:17]
	;; [unrolled: 1-line block ×5, first 2 shown]
	v_fma_f64 v[138:139], v[100:101], s[18:19], -v[138:139]
	v_fma_f64 v[140:141], v[96:97], s[10:11], v[140:141]
	v_fma_f64 v[189:190], v[100:101], s[28:29], v[142:143]
	v_fma_f64 v[191:192], v[96:97], s[34:35], v[144:145]
	v_fma_f64 v[142:143], v[100:101], s[28:29], -v[142:143]
	v_fma_f64 v[144:145], v[96:97], s[24:25], v[144:145]
	v_fma_f64 v[193:194], v[100:101], s[36:37], v[146:147]
	v_fma_f64 v[195:196], v[96:97], s[30:31], v[149:150]
	;; [unrolled: 4-line block ×3, first 2 shown]
	v_fma_f64 v[151:152], v[100:101], s[22:23], -v[151:152]
	v_fma_f64 v[153:154], v[96:97], s[26:27], v[153:154]
	v_fma_f64 v[201:202], v[100:101], s[8:9], v[102:103]
	v_add_f64 v[18:19], v[18:19], v[14:15]
	v_add_f64 v[0:1], v[0:1], v[8:9]
	v_fma_f64 v[203:204], v[96:97], s[2:3], v[16:17]
	v_fma_f64 v[100:101], v[100:101], s[8:9], -v[102:103]
	v_fma_f64 v[16:17], v[96:97], s[0:1], v[16:17]
	v_fma_f64 v[96:97], v[104:105], s[22:23], v[155:156]
	;; [unrolled: 1-line block ×3, first 2 shown]
	v_add_f64 v[126:127], v[88:89], v[126:127]
	v_add_f64 v[128:129], v[90:91], v[128:129]
	;; [unrolled: 1-line block ×8, first 2 shown]
	v_mul_f64 v[161:162], v[106:107], s[36:37]
	v_mul_f64 v[110:111], v[110:111], s[24:25]
	;; [unrolled: 1-line block ×3, first 2 shown]
	v_fma_f64 v[155:156], v[104:105], s[22:23], -v[155:156]
	v_fma_f64 v[157:158], v[108:109], s[20:21], v[157:158]
	v_fma_f64 v[205:206], v[104:105], s[36:37], v[159:160]
	;; [unrolled: 1-line block ×3, first 2 shown]
	v_add_f64 v[18:19], v[18:19], v[38:39]
	v_add_f64 v[0:1], v[0:1], v[20:21]
	;; [unrolled: 1-line block ×12, first 2 shown]
	v_fma_f64 v[211:212], v[108:109], s[10:11], v[163:164]
	v_fma_f64 v[4:5], v[104:105], s[18:19], -v[4:5]
	v_fma_f64 v[163:164], v[108:109], s[16:17], v[163:164]
	v_add_f64 v[136:137], v[90:91], v[136:137]
	v_add_f64 v[34:35], v[146:147], v[34:35]
	;; [unrolled: 1-line block ×5, first 2 shown]
	v_mul_f64 v[96:97], v[116:117], s[26:27]
	v_fma_f64 v[207:208], v[108:109], s[30:31], v[161:162]
	v_add_f64 v[18:19], v[18:19], v[36:37]
	v_add_f64 v[0:1], v[0:1], v[24:25]
	;; [unrolled: 1-line block ×6, first 2 shown]
	v_fma_f64 v[159:160], v[104:105], s[36:37], -v[159:160]
	v_fma_f64 v[161:162], v[108:109], s[38:39], v[161:162]
	v_add_f64 v[128:129], v[197:198], v[179:180]
	v_add_f64 v[138:139], v[199:200], v[181:182]
	;; [unrolled: 1-line block ×4, first 2 shown]
	v_fma_f64 v[88:89], v[108:109], s[0:1], v[167:168]
	v_add_f64 v[92:93], v[142:143], v[126:127]
	v_add_f64 v[124:125], v[193:194], v[175:176]
	;; [unrolled: 1-line block ×6, first 2 shown]
	v_mul_f64 v[100:101], v[114:115], s[22:23]
	v_fma_f64 v[102:103], v[104:105], s[8:9], -v[165:166]
	v_fma_f64 v[144:145], v[108:109], s[2:3], v[167:168]
	v_add_f64 v[18:19], v[18:19], v[30:31]
	v_add_f64 v[30:31], v[0:1], v[32:33]
	v_add_f64 v[0:1], v[26:27], -v[38:39]
	v_mul_f64 v[26:27], v[116:117], s[24:25]
	v_mul_f64 v[32:33], v[114:115], s[28:29]
	v_fma_f64 v[38:39], v[104:105], s[8:9], v[165:166]
	v_add_f64 v[20:21], v[155:156], v[20:21]
	v_add_f64 v[24:25], v[157:158], v[24:25]
	;; [unrolled: 1-line block ×3, first 2 shown]
	v_fma_f64 v[146:147], v[104:105], s[28:29], v[110:111]
	v_fma_f64 v[149:150], v[108:109], s[34:35], v[106:107]
	v_add_f64 v[4:5], v[4:5], v[34:35]
	v_add_f64 v[34:35], v[163:164], v[98:99]
	v_fma_f64 v[98:99], v[104:105], s[28:29], -v[110:111]
	v_fma_f64 v[104:105], v[108:109], s[24:25], v[106:107]
	v_add_f64 v[88:89], v[88:89], v[138:139]
	v_mul_f64 v[110:111], v[116:117], s[2:3]
	v_fma_f64 v[138:139], v[112:113], s[22:23], v[96:97]
	v_add_f64 v[90:91], v[191:192], v[173:174]
	v_add_f64 v[140:141], v[201:202], v[183:184]
	;; [unrolled: 1-line block ×7, first 2 shown]
	v_fma_f64 v[106:107], v[112:113], s[28:29], v[26:27]
	v_fma_f64 v[108:109], v[0:1], s[34:35], v[32:33]
	v_add_f64 v[38:39], v[38:39], v[128:129]
	v_fma_f64 v[26:27], v[112:113], s[28:29], -v[26:27]
	v_fma_f64 v[32:33], v[0:1], s[24:25], v[32:33]
	v_mul_f64 v[128:129], v[114:115], s[8:9]
	v_fma_f64 v[151:152], v[0:1], s[20:21], v[100:101]
	v_add_f64 v[102:103], v[102:103], v[130:131]
	v_fma_f64 v[96:97], v[112:113], s[22:23], -v[96:97]
	v_fma_f64 v[100:101], v[0:1], s[26:27], v[100:101]
	v_add_f64 v[130:131], v[144:145], v[136:137]
	v_mul_f64 v[136:137], v[116:117], s[30:31]
	v_mul_f64 v[144:145], v[114:115], s[36:37]
	;; [unrolled: 1-line block ×4, first 2 shown]
	v_add_f64 v[10:11], v[98:99], v[10:11]
	v_add_f64 v[16:17], v[104:105], v[16:17]
	v_add_f64 v[98:99], v[12:13], -v[8:9]
	v_add_f64 v[8:9], v[12:13], v[8:9]
	v_fma_f64 v[12:13], v[112:113], s[8:9], v[110:111]
	v_add_f64 v[90:91], v[207:208], v[90:91]
	v_add_f64 v[140:141], v[146:147], v[140:141]
	;; [unrolled: 1-line block ×7, first 2 shown]
	v_fma_f64 v[24:25], v[0:1], s[0:1], v[128:129]
	v_add_f64 v[26:27], v[138:139], v[36:37]
	v_fma_f64 v[32:33], v[112:113], s[8:9], -v[110:111]
	v_fma_f64 v[36:37], v[0:1], s[2:3], v[128:129]
	v_add_f64 v[92:93], v[96:97], v[92:93]
	v_add_f64 v[96:97], v[100:101], v[118:119]
	v_fma_f64 v[100:101], v[112:113], s[36:37], v[136:137]
	v_fma_f64 v[106:107], v[0:1], s[38:39], v[144:145]
	v_fma_f64 v[108:109], v[112:113], s[36:37], -v[136:137]
	v_fma_f64 v[110:111], v[0:1], s[30:31], v[144:145]
	v_fma_f64 v[118:119], v[112:113], s[18:19], v[116:117]
	;; [unrolled: 1-line block ×3, first 2 shown]
	v_fma_f64 v[112:113], v[112:113], s[18:19], -v[116:117]
	v_fma_f64 v[0:1], v[0:1], s[16:17], v[114:115]
	v_add_f64 v[114:115], v[94:95], v[14:15]
	v_add_f64 v[14:15], v[94:95], -v[14:15]
	v_mul_f64 v[94:95], v[98:99], s[30:31]
	v_mul_f64 v[116:117], v[8:9], s[36:37]
	v_add_f64 v[12:13], v[12:13], v[124:125]
	v_mul_f64 v[124:125], v[98:99], s[0:1]
	v_mul_f64 v[136:137], v[8:9], s[8:9]
	;; [unrolled: 1-line block ×3, first 2 shown]
	v_add_f64 v[126:127], v[24:25], v[126:127]
	v_mul_f64 v[24:25], v[98:99], s[24:25]
	v_add_f64 v[4:5], v[32:33], v[4:5]
	v_mul_f64 v[32:33], v[98:99], s[16:17]
	v_mul_f64 v[144:145], v[8:9], s[18:19]
	v_add_f64 v[146:147], v[36:37], v[34:35]
	v_mul_f64 v[34:35], v[98:99], s[20:21]
	v_mul_f64 v[8:9], v[8:9], s[22:23]
	v_add_f64 v[90:91], v[151:152], v[90:91]
	v_add_f64 v[98:99], v[100:101], v[38:39]
	;; [unrolled: 1-line block ×9, first 2 shown]
	v_fma_f64 v[16:17], v[114:115], s[36:37], v[94:95]
	v_fma_f64 v[38:39], v[14:15], s[38:39], v[116:117]
	v_fma_f64 v[88:89], v[114:115], s[36:37], -v[94:95]
	v_fma_f64 v[94:95], v[114:115], s[8:9], v[124:125]
	v_fma_f64 v[118:119], v[14:15], s[2:3], v[136:137]
	v_fma_f64 v[124:125], v[114:115], s[8:9], -v[124:125]
	;; [unrolled: 3-line block ×5, first 2 shown]
	v_fma_f64 v[157:158], v[14:15], s[20:21], v[8:9]
	v_fma_f64 v[144:145], v[14:15], s[16:17], v[144:145]
	;; [unrolled: 1-line block ×5, first 2 shown]
	v_add_f64 v[0:1], v[18:19], v[6:7]
	v_add_f64 v[2:3], v[30:31], v[2:3]
	;; [unrolled: 1-line block ×22, first 2 shown]
	buffer_gl0_inv
	ds_write_b128 v248, v[0:3]
	ds_write_b128 v248, v[36:39] offset:208
	ds_write_b128 v248, v[32:35] offset:416
	;; [unrolled: 1-line block ×10, first 2 shown]
	s_waitcnt lgkmcnt(0)
	s_barrier
	buffer_gl0_inv
	s_and_saveexec_b32 s0, vcc_lo
	s_cbranch_execz .LBB0_19
; %bb.18:
	ds_read_b128 v[0:3], v245
	ds_read_b128 v[36:39], v245 offset:2288
	ds_read_b128 v[32:35], v245 offset:4576
	;; [unrolled: 1-line block ×12, first 2 shown]
.LBB0_19:
	s_or_b32 exec_lo, exec_lo, s0
	s_and_saveexec_b32 s33, vcc_lo
	s_cbranch_execz .LBB0_21
; %bb.20:
	s_waitcnt lgkmcnt(11)
	v_mul_f64 v[92:93], v[70:71], v[38:39]
	s_waitcnt lgkmcnt(0)
	v_mul_f64 v[94:95], v[86:87], v[122:123]
	v_mul_f64 v[96:97], v[70:71], v[36:37]
	;; [unrolled: 1-line block ×13, first 2 shown]
	s_mov_b32 s22, 0x4bc48dbf
	s_mov_b32 s23, 0xbfcea1e5
	;; [unrolled: 1-line block ×8, first 2 shown]
	v_fma_f64 v[70:71], v[68:69], v[36:37], v[92:93]
	v_fma_f64 v[36:37], v[84:85], v[120:121], v[94:95]
	v_fma_f64 v[68:69], v[68:69], v[38:39], -v[96:97]
	v_fma_f64 v[38:39], v[84:85], v[122:123], -v[86:87]
	v_mul_f64 v[84:85], v[46:47], v[12:13]
	v_mul_f64 v[92:93], v[74:75], v[20:21]
	;; [unrolled: 1-line block ×7, first 2 shown]
	v_fma_f64 v[66:67], v[64:65], v[32:33], v[50:51]
	v_fma_f64 v[32:33], v[80:81], v[132:133], v[54:55]
	v_fma_f64 v[64:65], v[64:65], v[34:35], -v[102:103]
	v_fma_f64 v[34:35], v[80:81], v[134:135], -v[82:83]
	v_mul_f64 v[80:81], v[42:43], v[16:17]
	v_mul_f64 v[94:95], v[62:63], v[26:27]
	;; [unrolled: 1-line block ×3, first 2 shown]
	s_mov_b32 s10, 0xe00740e9
	s_mov_b32 s11, 0x3fec55a7
	;; [unrolled: 1-line block ×5, first 2 shown]
	v_add_f64 v[42:43], v[70:71], -v[36:37]
	s_mov_b32 s19, 0xbfe7f3cc
	v_add_f64 v[58:59], v[68:69], -v[38:39]
	v_add_f64 v[50:51], v[68:69], v[38:39]
	v_fma_f64 v[102:103], v[44:45], v[14:15], -v[84:85]
	v_fma_f64 v[104:105], v[40:41], v[16:17], v[86:87]
	v_fma_f64 v[62:63], v[56:57], v[28:29], v[46:47]
	;; [unrolled: 1-line block ×3, first 2 shown]
	v_fma_f64 v[74:75], v[56:57], v[30:31], -v[96:97]
	v_fma_f64 v[30:31], v[76:77], v[90:91], -v[78:79]
	v_add_f64 v[46:47], v[70:71], v[36:37]
	v_add_f64 v[56:57], v[66:67], -v[32:33]
	v_fma_f64 v[90:91], v[48:49], v[8:9], v[100:101]
	v_add_f64 v[54:55], v[64:65], -v[34:35]
	v_fma_f64 v[106:107], v[40:41], v[18:19], -v[80:81]
	v_fma_f64 v[16:17], v[60:61], v[24:25], v[94:95]
	v_fma_f64 v[18:19], v[60:61], v[26:27], -v[82:83]
	v_add_f64 v[78:79], v[64:65], v[34:35]
	v_add_f64 v[60:61], v[66:67], v[32:33]
	v_fma_f64 v[94:95], v[52:53], v[4:5], v[98:99]
	v_fma_f64 v[98:99], v[44:45], v[12:13], v[112:113]
	s_mov_b32 s30, 0x42a4c3d2
	v_mul_f64 v[76:77], v[42:43], s[22:23]
	v_mul_f64 v[4:5], v[42:43], s[26:27]
	;; [unrolled: 1-line block ×4, first 2 shown]
	s_mov_b32 s31, 0x3fea55e2
	s_mov_b32 s0, 0xebaa3ed8
	;; [unrolled: 1-line block ×3, first 2 shown]
	v_add_f64 v[86:87], v[62:63], -v[28:29]
	s_mov_b32 s35, 0xbfea55e2
	v_add_f64 v[88:89], v[74:75], -v[30:31]
	s_mov_b32 s34, s30
	v_mul_f64 v[24:25], v[56:57], s[28:29]
	v_mul_f64 v[112:113], v[56:57], s[8:9]
	;; [unrolled: 1-line block ×3, first 2 shown]
	s_mov_b32 s20, 0x2ef20147
	v_add_f64 v[80:81], v[104:105], -v[16:17]
	v_add_f64 v[82:83], v[106:107], -v[18:19]
	v_add_f64 v[12:13], v[106:107], v[18:19]
	v_add_f64 v[14:15], v[104:105], v[16:17]
	s_mov_b32 s24, 0x1ea71119
	s_mov_b32 s21, 0xbfedeba7
	;; [unrolled: 1-line block ×3, first 2 shown]
	v_fma_f64 v[40:41], v[50:51], s[16:17], v[76:77]
	v_fma_f64 v[116:117], v[50:51], s[16:17], -v[76:77]
	v_fma_f64 v[100:101], v[46:47], s[16:17], -v[96:97]
	v_fma_f64 v[96:97], v[46:47], s[16:17], v[96:97]
	v_fma_f64 v[76:77], v[72:73], v[20:21], v[114:115]
	v_fma_f64 v[72:73], v[72:73], v[22:23], -v[92:93]
	v_add_f64 v[20:21], v[74:75], v[30:31]
	v_add_f64 v[22:23], v[62:63], v[28:29]
	v_mul_f64 v[44:45], v[86:87], s[26:27]
	v_mul_f64 v[84:85], v[88:89], s[26:27]
	v_mul_f64 v[114:115], v[54:55], s[8:9]
	v_fma_f64 v[92:93], v[78:79], s[10:11], v[24:25]
	v_fma_f64 v[24:25], v[78:79], s[10:11], -v[24:25]
	v_fma_f64 v[118:119], v[60:61], s[10:11], -v[26:27]
	v_fma_f64 v[26:27], v[60:61], s[10:11], v[26:27]
	v_fma_f64 v[122:123], v[46:47], s[18:19], -v[8:9]
	v_fma_f64 v[120:121], v[50:51], s[18:19], v[4:5]
	v_fma_f64 v[136:137], v[78:79], s[0:1], v[112:113]
	v_fma_f64 v[4:5], v[50:51], s[18:19], -v[4:5]
	s_mov_b32 s39, 0x3fcea1e5
	s_mov_b32 s38, s22
	v_mul_f64 v[153:154], v[42:43], s[20:21]
	v_add_f64 v[40:41], v[2:3], v[40:41]
	v_add_f64 v[116:117], v[2:3], v[116:117]
	;; [unrolled: 1-line block ×4, first 2 shown]
	v_fma_f64 v[100:101], v[52:53], v[6:7], -v[108:109]
	v_fma_f64 v[96:97], v[48:49], v[10:11], -v[110:111]
	v_add_f64 v[48:49], v[98:99], -v[76:77]
	v_add_f64 v[52:53], v[102:103], -v[72:73]
	v_mul_f64 v[6:7], v[80:81], s[30:31]
	v_mul_f64 v[10:11], v[82:83], s[30:31]
	v_fma_f64 v[128:129], v[20:21], s[18:19], v[44:45]
	v_fma_f64 v[130:131], v[22:23], s[18:19], -v[84:85]
	v_fma_f64 v[132:133], v[20:21], s[18:19], -v[44:45]
	v_mul_f64 v[110:111], v[88:89], s[34:35]
	v_fma_f64 v[134:135], v[22:23], s[18:19], v[84:85]
	v_fma_f64 v[138:139], v[60:61], s[0:1], -v[114:115]
	v_add_f64 v[122:123], v[0:1], v[122:123]
	v_mul_f64 v[108:109], v[86:87], s[34:35]
	v_add_f64 v[120:121], v[2:3], v[120:121]
	v_add_f64 v[84:85], v[94:95], -v[90:91]
	v_add_f64 v[44:45], v[98:99], v[76:77]
	v_mul_f64 v[142:143], v[82:83], s[38:39]
	v_add_f64 v[140:141], v[92:93], v[40:41]
	v_add_f64 v[24:25], v[24:25], v[116:117]
	;; [unrolled: 1-line block ×5, first 2 shown]
	v_add_f64 v[92:93], v[100:101], -v[96:97]
	v_mul_f64 v[116:117], v[48:49], s[20:21]
	v_mul_f64 v[124:125], v[52:53], s[20:21]
	v_fma_f64 v[144:145], v[12:13], s[24:25], v[6:7]
	v_fma_f64 v[146:147], v[14:15], s[24:25], -v[10:11]
	v_fma_f64 v[6:7], v[12:13], s[24:25], -v[6:7]
	v_fma_f64 v[10:11], v[14:15], s[24:25], v[10:11]
	v_mul_f64 v[155:156], v[58:59], s[20:21]
	v_fma_f64 v[151:152], v[22:23], s[24:25], -v[110:111]
	s_mov_b32 s2, 0xb2365da1
	s_mov_b32 s3, 0xbfd6b1d8
	v_add_f64 v[122:123], v[138:139], v[122:123]
	v_fma_f64 v[149:150], v[20:21], s[24:25], v[108:109]
	v_add_f64 v[120:121], v[136:137], v[120:121]
	v_fma_f64 v[8:9], v[46:47], s[18:19], v[8:9]
	v_fma_f64 v[112:113], v[78:79], s[0:1], -v[112:113]
	v_add_f64 v[4:5], v[2:3], v[4:5]
	v_add_f64 v[128:129], v[128:129], v[140:141]
	s_mov_b32 s41, 0x3fe5384d
	v_add_f64 v[118:119], v[130:131], v[118:119]
	v_add_f64 v[130:131], v[132:133], v[24:25]
	v_add_f64 v[132:133], v[134:135], v[26:27]
	v_add_f64 v[26:27], v[100:101], v[96:97]
	v_add_f64 v[24:25], v[94:95], v[90:91]
	v_mul_f64 v[134:135], v[84:85], s[8:9]
	v_mul_f64 v[136:137], v[92:93], s[8:9]
	v_fma_f64 v[157:158], v[40:41], s[2:3], v[116:117]
	v_fma_f64 v[159:160], v[44:45], s[2:3], -v[124:125]
	v_fma_f64 v[116:117], v[40:41], s[2:3], -v[116:117]
	s_mov_b32 s40, s26
	v_mul_f64 v[126:127], v[80:81], s[38:39]
	v_fma_f64 v[124:125], v[44:45], s[2:3], v[124:125]
	v_fma_f64 v[163:164], v[14:15], s[16:17], -v[142:143]
	v_add_f64 v[122:123], v[151:152], v[122:123]
	v_fma_f64 v[151:152], v[50:51], s[2:3], v[153:154]
	v_fma_f64 v[167:168], v[46:47], s[2:3], -v[155:156]
	s_mov_b32 s37, 0xbfefc445
	s_mov_b32 s36, s8
	v_add_f64 v[120:121], v[149:150], v[120:121]
	v_add_f64 v[128:129], v[144:145], v[128:129]
	v_mul_f64 v[144:145], v[56:57], s[40:41]
	v_add_f64 v[118:119], v[146:147], v[118:119]
	v_add_f64 v[6:7], v[6:7], v[130:131]
	;; [unrolled: 1-line block ×3, first 2 shown]
	v_mul_f64 v[146:147], v[54:55], s[40:41]
	v_fma_f64 v[114:115], v[60:61], s[0:1], v[114:115]
	v_fma_f64 v[149:150], v[26:27], s[0:1], v[134:135]
	v_fma_f64 v[165:166], v[24:25], s[0:1], -v[136:137]
	v_fma_f64 v[134:135], v[26:27], s[0:1], -v[134:135]
	;; [unrolled: 1-line block ×3, first 2 shown]
	v_add_f64 v[112:113], v[112:113], v[4:5]
	v_fma_f64 v[136:137], v[24:25], s[0:1], v[136:137]
	v_fma_f64 v[161:162], v[12:13], s[16:17], v[126:127]
	v_fma_f64 v[153:154], v[50:51], s[2:3], -v[153:154]
	v_add_f64 v[68:69], v[2:3], v[68:69]
	v_add_f64 v[122:123], v[163:164], v[122:123]
	v_mul_f64 v[163:164], v[88:89], s[28:29]
	v_add_f64 v[151:152], v[2:3], v[151:152]
	v_add_f64 v[167:168], v[0:1], v[167:168]
	;; [unrolled: 1-line block ×3, first 2 shown]
	v_mul_f64 v[138:139], v[48:49], s[28:29]
	v_add_f64 v[128:129], v[157:158], v[128:129]
	v_mul_f64 v[157:158], v[42:43], s[36:37]
	v_add_f64 v[118:119], v[159:160], v[118:119]
	v_add_f64 v[116:117], v[116:117], v[6:7]
	;; [unrolled: 1-line block ×4, first 2 shown]
	v_fma_f64 v[173:174], v[78:79], s[18:19], v[144:145]
	v_fma_f64 v[177:178], v[60:61], s[18:19], -v[146:147]
	v_fma_f64 v[155:156], v[46:47], s[2:3], v[155:156]
	v_fma_f64 v[110:111], v[22:23], s[24:25], v[110:111]
	v_fma_f64 v[144:145], v[78:79], s[18:19], -v[144:145]
	v_add_f64 v[108:109], v[108:109], v[112:113]
	v_mul_f64 v[112:113], v[58:59], s[36:37]
	v_add_f64 v[120:121], v[161:162], v[120:121]
	v_mul_f64 v[161:162], v[86:87], s[28:29]
	v_add_f64 v[153:154], v[2:3], v[153:154]
	s_mov_b32 s43, 0x3fedeba7
	s_mov_b32 s42, s20
	v_add_f64 v[64:65], v[68:69], v[64:65]
	v_mul_f64 v[140:141], v[52:53], s[28:29]
	v_add_f64 v[66:67], v[70:71], v[66:67]
	v_fma_f64 v[169:170], v[40:41], s[10:11], v[138:139]
	v_add_f64 v[6:7], v[149:150], v[128:129]
	v_fma_f64 v[149:150], v[22:23], s[10:11], -v[163:164]
	v_add_f64 v[4:5], v[165:166], v[118:119]
	v_add_f64 v[10:11], v[134:135], v[116:117]
	v_mul_f64 v[116:117], v[56:57], s[22:23]
	v_fma_f64 v[118:119], v[50:51], s[0:1], v[157:158]
	v_add_f64 v[114:115], v[114:115], v[159:160]
	v_add_f64 v[8:9], v[136:137], v[124:125]
	v_fma_f64 v[124:125], v[12:13], s[16:17], -v[126:127]
	v_add_f64 v[134:135], v[173:174], v[151:152]
	v_add_f64 v[151:152], v[177:178], v[167:168]
	v_fma_f64 v[146:147], v[60:61], s[18:19], v[146:147]
	v_add_f64 v[155:156], v[0:1], v[155:156]
	v_fma_f64 v[142:143], v[14:15], s[16:17], v[142:143]
	v_mul_f64 v[159:160], v[86:87], s[42:43]
	v_fma_f64 v[167:168], v[46:47], s[0:1], -v[112:113]
	v_add_f64 v[68:69], v[144:145], v[153:154]
	v_mul_f64 v[126:127], v[80:81], s[36:37]
	v_add_f64 v[64:65], v[64:65], v[74:75]
	v_fma_f64 v[171:172], v[44:45], s[10:11], -v[140:141]
	v_add_f64 v[62:63], v[66:67], v[62:63]
	v_fma_f64 v[128:129], v[20:21], s[10:11], v[161:162]
	v_mul_f64 v[136:137], v[82:83], s[36:37]
	v_add_f64 v[120:121], v[169:170], v[120:121]
	v_mul_f64 v[169:170], v[48:49], s[38:39]
	v_fma_f64 v[112:113], v[46:47], s[0:1], v[112:113]
	v_fma_f64 v[165:166], v[78:79], s[16:17], v[116:117]
	v_add_f64 v[118:119], v[2:3], v[118:119]
	v_add_f64 v[110:111], v[110:111], v[114:115]
	v_fma_f64 v[114:115], v[40:41], s[10:11], -v[138:139]
	v_mul_f64 v[138:139], v[54:55], s[22:23]
	v_add_f64 v[70:71], v[124:125], v[108:109]
	v_add_f64 v[149:150], v[149:150], v[151:152]
	v_fma_f64 v[151:152], v[20:21], s[10:11], -v[161:162]
	v_fma_f64 v[108:109], v[50:51], s[0:1], -v[157:158]
	v_fma_f64 v[124:125], v[22:23], s[10:11], v[163:164]
	v_add_f64 v[144:145], v[146:147], v[155:156]
	v_mul_f64 v[146:147], v[80:81], s[28:29]
	v_fma_f64 v[153:154], v[20:21], s[2:3], v[159:160]
	v_add_f64 v[157:158], v[0:1], v[167:168]
	v_add_f64 v[64:65], v[64:65], v[106:107]
	;; [unrolled: 1-line block ×4, first 2 shown]
	v_fma_f64 v[171:172], v[12:13], s[0:1], v[126:127]
	v_add_f64 v[128:129], v[128:129], v[134:135]
	v_fma_f64 v[173:174], v[14:15], s[0:1], -v[136:137]
	v_fma_f64 v[126:127], v[12:13], s[0:1], -v[126:127]
	;; [unrolled: 1-line block ×3, first 2 shown]
	v_mul_f64 v[159:160], v[92:93], s[28:29]
	v_add_f64 v[118:119], v[165:166], v[118:119]
	v_add_f64 v[110:111], v[142:143], v[110:111]
	v_mul_f64 v[142:143], v[88:89], s[42:43]
	v_fma_f64 v[155:156], v[60:61], s[16:17], -v[138:139]
	v_add_f64 v[70:71], v[114:115], v[70:71]
	v_mul_f64 v[114:115], v[82:83], s[28:29]
	v_add_f64 v[66:67], v[151:152], v[68:69]
	v_fma_f64 v[68:69], v[78:79], s[16:17], -v[116:117]
	v_add_f64 v[74:75], v[2:3], v[108:109]
	v_fma_f64 v[108:109], v[14:15], s[0:1], v[136:137]
	v_add_f64 v[116:117], v[124:125], v[144:145]
	v_fma_f64 v[136:137], v[12:13], s[10:11], v[146:147]
	v_mul_f64 v[134:135], v[52:53], s[38:39]
	v_add_f64 v[64:65], v[64:65], v[102:103]
	v_fma_f64 v[163:164], v[40:41], s[16:17], v[169:170]
	v_add_f64 v[62:63], v[62:63], v[98:99]
	v_mul_f64 v[165:166], v[92:93], s[30:31]
	v_add_f64 v[128:129], v[171:172], v[128:129]
	v_fma_f64 v[146:147], v[12:13], s[10:11], -v[146:147]
	v_add_f64 v[149:150], v[173:174], v[149:150]
	v_add_f64 v[112:113], v[0:1], v[112:113]
	v_mul_f64 v[130:131], v[84:85], s[20:21]
	v_add_f64 v[118:119], v[153:154], v[118:119]
	v_fma_f64 v[140:141], v[44:45], s[10:11], v[140:141]
	v_fma_f64 v[144:145], v[22:23], s[2:3], -v[142:143]
	v_add_f64 v[151:152], v[155:156], v[157:158]
	v_mul_f64 v[157:158], v[84:85], s[28:29]
	s_mov_b32 s29, 0xbfddbe06
	v_fma_f64 v[155:156], v[40:41], s[16:17], -v[169:170]
	v_add_f64 v[66:67], v[126:127], v[66:67]
	v_add_f64 v[68:69], v[68:69], v[74:75]
	v_mul_f64 v[98:99], v[58:59], s[28:29]
	v_mul_f64 v[58:59], v[58:59], s[34:35]
	v_fma_f64 v[142:143], v[22:23], s[2:3], v[142:143]
	v_fma_f64 v[167:168], v[44:45], s[16:17], -v[134:135]
	v_add_f64 v[64:65], v[64:65], v[100:101]
	v_fma_f64 v[74:75], v[44:45], s[16:17], v[134:135]
	v_add_f64 v[62:63], v[62:63], v[94:95]
	v_fma_f64 v[153:154], v[24:25], s[24:25], -v[165:166]
	v_add_f64 v[128:129], v[163:164], v[128:129]
	v_fma_f64 v[102:103], v[24:25], s[24:25], v[165:166]
	v_mul_f64 v[165:166], v[54:55], s[20:21]
	v_mul_f64 v[54:55], v[54:55], s[34:35]
	v_fma_f64 v[175:176], v[26:27], s[2:3], v[130:131]
	v_add_f64 v[118:119], v[136:137], v[118:119]
	v_fma_f64 v[136:137], v[14:15], s[10:11], -v[114:115]
	v_fma_f64 v[124:125], v[26:27], s[2:3], -v[130:131]
	v_add_f64 v[144:145], v[144:145], v[151:152]
	v_mul_f64 v[151:152], v[42:43], s[34:35]
	v_mul_f64 v[42:43], v[42:43], s[28:29]
	;; [unrolled: 1-line block ×3, first 2 shown]
	v_add_f64 v[66:67], v[155:156], v[66:67]
	v_add_f64 v[68:69], v[104:105], v[68:69]
	v_fma_f64 v[104:105], v[60:61], s[16:17], v[138:139]
	v_mul_f64 v[155:156], v[56:57], s[20:21]
	v_mul_f64 v[56:57], v[56:57], s[34:35]
	v_fma_f64 v[94:95], v[46:47], s[10:11], v[98:99]
	v_fma_f64 v[100:101], v[46:47], s[24:25], v[58:59]
	v_fma_f64 v[58:59], v[46:47], s[24:25], -v[58:59]
	v_fma_f64 v[46:47], v[46:47], s[10:11], -v[98:99]
	v_add_f64 v[64:65], v[64:65], v[96:97]
	v_add_f64 v[62:63], v[62:63], v[90:91]
	;; [unrolled: 1-line block ×3, first 2 shown]
	v_mul_f64 v[96:97], v[80:81], s[40:41]
	v_fma_f64 v[169:170], v[60:61], s[24:25], v[54:55]
	v_mul_f64 v[134:135], v[52:53], s[34:35]
	v_fma_f64 v[114:115], v[14:15], s[10:11], v[114:115]
	v_add_f64 v[106:107], v[108:109], v[116:117]
	v_mul_f64 v[108:109], v[84:85], s[26:27]
	v_add_f64 v[136:137], v[136:137], v[144:145]
	v_fma_f64 v[163:164], v[50:51], s[24:25], -v[151:152]
	v_fma_f64 v[144:145], v[50:51], s[10:11], -v[42:43]
	v_fma_f64 v[42:43], v[50:51], s[10:11], v[42:43]
	v_fma_f64 v[116:117], v[40:41], s[24:25], v[130:131]
	v_add_f64 v[68:69], v[146:147], v[68:69]
	v_fma_f64 v[146:147], v[50:51], s[24:25], v[151:152]
	v_add_f64 v[104:105], v[104:105], v[112:113]
	v_mul_f64 v[112:113], v[86:87], s[22:23]
	v_mul_f64 v[50:51], v[88:89], s[22:23]
	v_fma_f64 v[98:99], v[78:79], s[2:3], -v[155:156]
	v_mul_f64 v[86:87], v[86:87], s[36:37]
	v_mul_f64 v[88:89], v[88:89], s[36:37]
	v_fma_f64 v[167:168], v[78:79], s[24:25], -v[56:57]
	v_add_f64 v[90:91], v[0:1], v[94:95]
	v_add_f64 v[94:95], v[0:1], v[100:101]
	v_fma_f64 v[100:101], v[78:79], s[2:3], v[155:156]
	v_add_f64 v[58:59], v[0:1], v[58:59]
	v_fma_f64 v[56:57], v[78:79], s[24:25], v[56:57]
	v_add_f64 v[0:1], v[0:1], v[46:47]
	v_add_f64 v[64:65], v[64:65], v[72:73]
	;; [unrolled: 1-line block ×3, first 2 shown]
	v_mul_f64 v[155:156], v[82:83], s[40:41]
	v_add_f64 v[151:152], v[2:3], v[163:164]
	v_add_f64 v[144:145], v[2:3], v[144:145]
	v_fma_f64 v[163:164], v[60:61], s[2:3], v[165:166]
	v_fma_f64 v[165:166], v[60:61], s[2:3], -v[165:166]
	v_mul_f64 v[78:79], v[80:81], s[20:21]
	v_add_f64 v[146:147], v[2:3], v[146:147]
	v_add_f64 v[2:3], v[2:3], v[42:43]
	v_fma_f64 v[42:43], v[60:61], s[24:25], -v[54:55]
	v_fma_f64 v[46:47], v[20:21], s[16:17], -v[112:113]
	v_mul_f64 v[80:81], v[82:83], s[20:21]
	v_fma_f64 v[82:83], v[20:21], s[0:1], -v[86:87]
	v_fma_f64 v[60:61], v[22:23], s[16:17], v[50:51]
	v_fma_f64 v[50:51], v[22:23], s[16:17], -v[50:51]
	v_add_f64 v[72:73], v[169:170], v[90:91]
	v_mul_f64 v[90:91], v[48:49], s[8:9]
	v_mul_f64 v[48:49], v[48:49], s[26:27]
	v_fma_f64 v[130:131], v[40:41], s[24:25], -v[130:131]
	v_mul_f64 v[126:127], v[92:93], s[26:27]
	v_mul_f64 v[161:162], v[84:85], s[30:31]
	v_add_f64 v[18:19], v[64:65], v[18:19]
	v_add_f64 v[16:17], v[62:63], v[16:17]
	;; [unrolled: 1-line block ×5, first 2 shown]
	v_fma_f64 v[144:145], v[22:23], s[0:1], v[88:89]
	v_add_f64 v[76:77], v[163:164], v[94:95]
	v_fma_f64 v[94:95], v[20:21], s[16:17], v[112:113]
	v_add_f64 v[100:101], v[100:101], v[146:147]
	v_add_f64 v[58:59], v[165:166], v[58:59]
	v_fma_f64 v[20:21], v[20:21], s[0:1], v[86:87]
	v_add_f64 v[2:3], v[56:57], v[2:3]
	v_fma_f64 v[22:23], v[22:23], s[0:1], -v[88:89]
	v_add_f64 v[0:1], v[42:43], v[0:1]
	v_mul_f64 v[112:113], v[52:53], s[8:9]
	v_fma_f64 v[42:43], v[12:13], s[18:19], -v[96:97]
	v_mul_f64 v[52:53], v[52:53], s[26:27]
	v_fma_f64 v[56:57], v[12:13], s[2:3], -v[78:79]
	v_fma_f64 v[86:87], v[14:15], s[2:3], v[80:81]
	v_mul_f64 v[132:133], v[92:93], s[20:21]
	v_fma_f64 v[138:139], v[44:45], s[24:25], -v[134:135]
	v_add_f64 v[110:111], v[140:141], v[110:111]
	v_add_f64 v[18:19], v[18:19], v[30:31]
	v_add_f64 v[16:17], v[16:17], v[28:29]
	v_fma_f64 v[140:141], v[26:27], s[24:25], v[161:162]
	v_add_f64 v[46:47], v[46:47], v[54:55]
	v_add_f64 v[82:83], v[82:83], v[98:99]
	;; [unrolled: 1-line block ×3, first 2 shown]
	v_fma_f64 v[54:55], v[14:15], s[18:19], v[155:156]
	v_add_f64 v[60:61], v[60:61], v[76:77]
	v_fma_f64 v[76:77], v[12:13], s[18:19], v[96:97]
	v_add_f64 v[88:89], v[94:95], v[100:101]
	v_fma_f64 v[94:95], v[14:15], s[18:19], -v[155:156]
	v_add_f64 v[50:51], v[50:51], v[58:59]
	v_fma_f64 v[12:13], v[12:13], s[2:3], v[78:79]
	v_add_f64 v[2:3], v[20:21], v[2:3]
	v_fma_f64 v[14:15], v[14:15], s[2:3], -v[80:81]
	v_add_f64 v[0:1], v[22:23], v[0:1]
	v_mul_f64 v[58:59], v[92:93], s[22:23]
	v_fma_f64 v[78:79], v[40:41], s[18:19], -v[48:49]
	v_fma_f64 v[80:81], v[44:45], s[18:19], v[52:53]
	v_fma_f64 v[20:21], v[40:41], s[0:1], -v[90:91]
	v_fma_f64 v[72:73], v[44:45], s[24:25], v[134:135]
	v_fma_f64 v[161:162], v[26:27], s[24:25], -v[161:162]
	v_add_f64 v[34:35], v[18:19], v[34:35]
	v_add_f64 v[16:17], v[16:17], v[32:33]
	;; [unrolled: 1-line block ×4, first 2 shown]
	v_mul_f64 v[46:47], v[84:85], s[22:23]
	v_add_f64 v[56:57], v[56:57], v[82:83]
	v_add_f64 v[28:29], v[86:87], v[62:63]
	v_fma_f64 v[42:43], v[44:45], s[0:1], v[112:113]
	v_add_f64 v[30:31], v[54:55], v[60:61]
	v_add_f64 v[54:55], v[114:115], v[64:65]
	v_fma_f64 v[62:63], v[40:41], s[0:1], v[90:91]
	v_add_f64 v[64:65], v[76:77], v[88:89]
	v_fma_f64 v[76:77], v[44:45], s[0:1], -v[112:113]
	v_add_f64 v[50:51], v[94:95], v[50:51]
	v_fma_f64 v[40:41], v[40:41], s[18:19], v[48:49]
	v_add_f64 v[2:3], v[12:13], v[2:3]
	v_fma_f64 v[12:13], v[44:45], s[18:19], -v[52:53]
	v_add_f64 v[0:1], v[14:15], v[0:1]
	v_add_f64 v[44:45], v[130:131], v[68:69]
	v_fma_f64 v[52:53], v[26:27], s[10:11], -v[157:158]
	v_fma_f64 v[68:69], v[24:25], s[10:11], v[159:160]
	v_fma_f64 v[60:61], v[26:27], s[18:19], -v[108:109]
	v_fma_f64 v[48:49], v[24:25], s[18:19], v[126:127]
	;; [unrolled: 2-line block ×3, first 2 shown]
	v_add_f64 v[20:21], v[20:21], v[22:23]
	v_fma_f64 v[82:83], v[26:27], s[16:17], -v[46:47]
	v_add_f64 v[56:57], v[78:79], v[56:57]
	v_fma_f64 v[78:79], v[24:25], s[16:17], v[58:59]
	v_add_f64 v[28:29], v[80:81], v[28:29]
	v_add_f64 v[42:43], v[42:43], v[30:31]
	;; [unrolled: 1-line block ×3, first 2 shown]
	v_fma_f64 v[106:107], v[26:27], s[18:19], v[108:109]
	v_add_f64 v[116:117], v[116:117], v[118:119]
	v_fma_f64 v[118:119], v[24:25], s[18:19], -v[126:127]
	v_add_f64 v[72:73], v[138:139], v[136:137]
	v_fma_f64 v[80:81], v[26:27], s[10:11], v[157:158]
	v_add_f64 v[62:63], v[62:63], v[64:65]
	v_fma_f64 v[64:65], v[24:25], s[10:11], -v[159:160]
	v_add_f64 v[50:51], v[76:77], v[50:51]
	;; [unrolled: 4-line block ×3, first 2 shown]
	v_add_f64 v[34:35], v[34:35], v[38:39]
	v_add_f64 v[32:33], v[16:17], v[36:37]
	;; [unrolled: 1-line block ×22, first 2 shown]
	ds_write_b128 v245, v[32:35]
	ds_write_b128 v245, v[28:31] offset:2288
	ds_write_b128 v245, v[24:27] offset:4576
	ds_write_b128 v245, v[20:23] offset:6864
	ds_write_b128 v245, v[16:19] offset:9152
	ds_write_b128 v245, v[12:15] offset:11440
	ds_write_b128 v245, v[8:11] offset:13728
	ds_write_b128 v245, v[4:7] offset:16016
	ds_write_b128 v245, v[0:3] offset:18304
	ds_write_b128 v245, v[36:39] offset:20592
	ds_write_b128 v245, v[40:43] offset:22880
	ds_write_b128 v245, v[44:47] offset:25168
	ds_write_b128 v245, v[48:51] offset:27456
.LBB0_21:
	s_or_b32 exec_lo, exec_lo, s33
	s_waitcnt lgkmcnt(0)
	s_barrier
	buffer_gl0_inv
	s_and_b32 exec_lo, exec_lo, vcc_lo
	s_cbranch_execz .LBB0_23
; %bb.22:
	v_add_co_u32 v0, s0, s14, v245
	v_add_co_ci_u32_e64 v1, null, s15, 0, s0
	v_mad_u64_u32 v[50:51], null, s6, v148, 0
	v_add_co_u32 v6, vcc_lo, 0x800, v0
	v_add_co_ci_u32_e32 v7, vcc_lo, 0, v1, vcc_lo
	v_add_co_u32 v10, vcc_lo, 0x1000, v0
	v_add_co_ci_u32_e32 v11, vcc_lo, 0, v1, vcc_lo
	;; [unrolled: 2-line block ×8, first 2 shown]
	v_add_co_u32 v38, vcc_lo, 0x5000, v0
	s_clause 0x2
	global_load_dwordx4 v[2:5], v245, s[14:15]
	global_load_dwordx4 v[6:9], v[6:7], off offset:240
	global_load_dwordx4 v[10:13], v[10:11], off offset:480
	v_add_co_ci_u32_e32 v39, vcc_lo, 0, v1, vcc_lo
	v_add_co_u32 v42, vcc_lo, 0x5800, v0
	v_add_co_ci_u32_e32 v43, vcc_lo, 0, v1, vcc_lo
	v_add_co_u32 v46, vcc_lo, 0x6000, v0
	s_clause 0x5
	global_load_dwordx4 v[14:17], v[14:15], off offset:720
	global_load_dwordx4 v[18:21], v[18:19], off offset:960
	global_load_dwordx4 v[22:25], v[22:23], off offset:1200
	global_load_dwordx4 v[26:29], v[26:27], off offset:1440
	global_load_dwordx4 v[30:33], v[30:31], off offset:1680
	global_load_dwordx4 v[34:37], v[34:35], off offset:1920
	v_add_co_ci_u32_e32 v47, vcc_lo, 0, v1, vcc_lo
	s_clause 0x2
	global_load_dwordx4 v[38:41], v[38:39], off offset:112
	global_load_dwordx4 v[42:45], v[42:43], off offset:352
	;; [unrolled: 1-line block ×3, first 2 shown]
	v_mad_u64_u32 v[52:53], null, s4, v246, 0
	s_mul_i32 s0, s5, 0x8f0
	s_mul_hi_u32 s1, s4, 0x8f0
	s_mul_i32 s2, s4, 0x8f0
	s_add_i32 s3, s1, s0
	s_mov_b32 s0, 0x2ab08acf
	s_mov_b32 s1, 0x3f41a06e
	v_mad_u64_u32 v[54:55], null, s7, v148, v[51:52]
	v_mad_u64_u32 v[55:56], null, s5, v246, v[53:54]
	v_mov_b32_e32 v51, v54
	v_lshlrev_b64 v[50:51], 4, v[50:51]
	v_mov_b32_e32 v53, v55
	v_lshlrev_b64 v[52:53], 4, v[52:53]
	v_add_co_u32 v50, vcc_lo, s12, v50
	v_add_co_ci_u32_e32 v51, vcc_lo, s13, v51, vcc_lo
	v_add_co_u32 v102, vcc_lo, v50, v52
	v_add_co_ci_u32_e32 v103, vcc_lo, v51, v53, vcc_lo
	ds_read_b128 v[50:53], v245
	ds_read_b128 v[54:57], v245 offset:2288
	ds_read_b128 v[58:61], v245 offset:4576
	;; [unrolled: 1-line block ×11, first 2 shown]
	v_add_co_u32 v104, vcc_lo, v102, s2
	v_add_co_ci_u32_e32 v105, vcc_lo, s3, v103, vcc_lo
	ds_read_b128 v[98:101], v245 offset:27456
	v_add_co_u32 v106, vcc_lo, v104, s2
	v_add_co_ci_u32_e32 v107, vcc_lo, s3, v105, vcc_lo
	v_add_co_u32 v108, vcc_lo, v106, s2
	v_add_co_ci_u32_e32 v109, vcc_lo, s3, v107, vcc_lo
	;; [unrolled: 2-line block ×8, first 2 shown]
	s_waitcnt vmcnt(11) lgkmcnt(12)
	v_mul_f64 v[122:123], v[52:53], v[4:5]
	v_mul_f64 v[4:5], v[50:51], v[4:5]
	s_waitcnt vmcnt(10) lgkmcnt(11)
	v_mul_f64 v[124:125], v[56:57], v[8:9]
	v_mul_f64 v[8:9], v[54:55], v[8:9]
	;; [unrolled: 3-line block ×12, first 2 shown]
	v_fma_f64 v[50:51], v[50:51], v[2:3], v[122:123]
	v_fma_f64 v[4:5], v[2:3], v[52:53], -v[4:5]
	v_fma_f64 v[52:53], v[54:55], v[6:7], v[124:125]
	v_fma_f64 v[8:9], v[6:7], v[56:57], -v[8:9]
	;; [unrolled: 2-line block ×12, first 2 shown]
	v_mul_f64 v[2:3], v[50:51], s[0:1]
	v_mul_f64 v[4:5], v[4:5], s[0:1]
	;; [unrolled: 1-line block ×24, first 2 shown]
	v_add_co_u32 v50, vcc_lo, v120, s2
	v_add_co_ci_u32_e32 v51, vcc_lo, s3, v121, vcc_lo
	v_add_co_u32 v0, vcc_lo, 0x6800, v0
	v_add_co_ci_u32_e32 v1, vcc_lo, 0, v1, vcc_lo
	;; [unrolled: 2-line block ×3, first 2 shown]
	global_store_dwordx4 v[102:103], v[2:5], off
	global_store_dwordx4 v[104:105], v[6:9], off
	;; [unrolled: 1-line block ×12, first 2 shown]
	global_load_dwordx4 v[0:3], v[0:1], off offset:832
	s_waitcnt vmcnt(0) lgkmcnt(0)
	v_mul_f64 v[4:5], v[100:101], v[2:3]
	v_mul_f64 v[2:3], v[98:99], v[2:3]
	v_fma_f64 v[4:5], v[98:99], v[0:1], v[4:5]
	v_fma_f64 v[2:3], v[0:1], v[100:101], -v[2:3]
	v_mul_f64 v[0:1], v[4:5], s[0:1]
	v_mul_f64 v[2:3], v[2:3], s[0:1]
	v_add_co_u32 v4, vcc_lo, v52, s2
	v_add_co_ci_u32_e32 v5, vcc_lo, s3, v53, vcc_lo
	global_store_dwordx4 v[4:5], v[0:3], off
.LBB0_23:
	s_endpgm
	.section	.rodata,"a",@progbits
	.p2align	6, 0x0
	.amdhsa_kernel bluestein_single_back_len1859_dim1_dp_op_CI_CI
		.amdhsa_group_segment_fixed_size 29744
		.amdhsa_private_segment_fixed_size 0
		.amdhsa_kernarg_size 104
		.amdhsa_user_sgpr_count 6
		.amdhsa_user_sgpr_private_segment_buffer 1
		.amdhsa_user_sgpr_dispatch_ptr 0
		.amdhsa_user_sgpr_queue_ptr 0
		.amdhsa_user_sgpr_kernarg_segment_ptr 1
		.amdhsa_user_sgpr_dispatch_id 0
		.amdhsa_user_sgpr_flat_scratch_init 0
		.amdhsa_user_sgpr_private_segment_size 0
		.amdhsa_wavefront_size32 1
		.amdhsa_uses_dynamic_stack 0
		.amdhsa_system_sgpr_private_segment_wavefront_offset 0
		.amdhsa_system_sgpr_workgroup_id_x 1
		.amdhsa_system_sgpr_workgroup_id_y 0
		.amdhsa_system_sgpr_workgroup_id_z 0
		.amdhsa_system_sgpr_workgroup_info 0
		.amdhsa_system_vgpr_workitem_id 0
		.amdhsa_next_free_vgpr 251
		.amdhsa_next_free_sgpr 46
		.amdhsa_reserve_vcc 1
		.amdhsa_reserve_flat_scratch 0
		.amdhsa_float_round_mode_32 0
		.amdhsa_float_round_mode_16_64 0
		.amdhsa_float_denorm_mode_32 3
		.amdhsa_float_denorm_mode_16_64 3
		.amdhsa_dx10_clamp 1
		.amdhsa_ieee_mode 1
		.amdhsa_fp16_overflow 0
		.amdhsa_workgroup_processor_mode 1
		.amdhsa_memory_ordered 1
		.amdhsa_forward_progress 0
		.amdhsa_shared_vgpr_count 0
		.amdhsa_exception_fp_ieee_invalid_op 0
		.amdhsa_exception_fp_denorm_src 0
		.amdhsa_exception_fp_ieee_div_zero 0
		.amdhsa_exception_fp_ieee_overflow 0
		.amdhsa_exception_fp_ieee_underflow 0
		.amdhsa_exception_fp_ieee_inexact 0
		.amdhsa_exception_int_div_zero 0
	.end_amdhsa_kernel
	.text
.Lfunc_end0:
	.size	bluestein_single_back_len1859_dim1_dp_op_CI_CI, .Lfunc_end0-bluestein_single_back_len1859_dim1_dp_op_CI_CI
                                        ; -- End function
	.section	.AMDGPU.csdata,"",@progbits
; Kernel info:
; codeLenInByte = 27068
; NumSgprs: 48
; NumVgprs: 251
; ScratchSize: 0
; MemoryBound: 0
; FloatMode: 240
; IeeeMode: 1
; LDSByteSize: 29744 bytes/workgroup (compile time only)
; SGPRBlocks: 5
; VGPRBlocks: 31
; NumSGPRsForWavesPerEU: 48
; NumVGPRsForWavesPerEU: 251
; Occupancy: 4
; WaveLimiterHint : 1
; COMPUTE_PGM_RSRC2:SCRATCH_EN: 0
; COMPUTE_PGM_RSRC2:USER_SGPR: 6
; COMPUTE_PGM_RSRC2:TRAP_HANDLER: 0
; COMPUTE_PGM_RSRC2:TGID_X_EN: 1
; COMPUTE_PGM_RSRC2:TGID_Y_EN: 0
; COMPUTE_PGM_RSRC2:TGID_Z_EN: 0
; COMPUTE_PGM_RSRC2:TIDIG_COMP_CNT: 0
	.text
	.p2alignl 6, 3214868480
	.fill 48, 4, 3214868480
	.type	__hip_cuid_d97ac5670b961b3,@object ; @__hip_cuid_d97ac5670b961b3
	.section	.bss,"aw",@nobits
	.globl	__hip_cuid_d97ac5670b961b3
__hip_cuid_d97ac5670b961b3:
	.byte	0                               ; 0x0
	.size	__hip_cuid_d97ac5670b961b3, 1

	.ident	"AMD clang version 19.0.0git (https://github.com/RadeonOpenCompute/llvm-project roc-6.4.0 25133 c7fe45cf4b819c5991fe208aaa96edf142730f1d)"
	.section	".note.GNU-stack","",@progbits
	.addrsig
	.addrsig_sym __hip_cuid_d97ac5670b961b3
	.amdgpu_metadata
---
amdhsa.kernels:
  - .args:
      - .actual_access:  read_only
        .address_space:  global
        .offset:         0
        .size:           8
        .value_kind:     global_buffer
      - .actual_access:  read_only
        .address_space:  global
        .offset:         8
        .size:           8
        .value_kind:     global_buffer
      - .actual_access:  read_only
        .address_space:  global
        .offset:         16
        .size:           8
        .value_kind:     global_buffer
      - .actual_access:  read_only
        .address_space:  global
        .offset:         24
        .size:           8
        .value_kind:     global_buffer
      - .actual_access:  read_only
        .address_space:  global
        .offset:         32
        .size:           8
        .value_kind:     global_buffer
      - .offset:         40
        .size:           8
        .value_kind:     by_value
      - .address_space:  global
        .offset:         48
        .size:           8
        .value_kind:     global_buffer
      - .address_space:  global
        .offset:         56
        .size:           8
        .value_kind:     global_buffer
      - .address_space:  global
        .offset:         64
        .size:           8
        .value_kind:     global_buffer
      - .address_space:  global
        .offset:         72
        .size:           8
        .value_kind:     global_buffer
      - .offset:         80
        .size:           4
        .value_kind:     by_value
      - .address_space:  global
        .offset:         88
        .size:           8
        .value_kind:     global_buffer
      - .address_space:  global
        .offset:         96
        .size:           8
        .value_kind:     global_buffer
    .group_segment_fixed_size: 29744
    .kernarg_segment_align: 8
    .kernarg_segment_size: 104
    .language:       OpenCL C
    .language_version:
      - 2
      - 0
    .max_flat_workgroup_size: 169
    .name:           bluestein_single_back_len1859_dim1_dp_op_CI_CI
    .private_segment_fixed_size: 0
    .sgpr_count:     48
    .sgpr_spill_count: 0
    .symbol:         bluestein_single_back_len1859_dim1_dp_op_CI_CI.kd
    .uniform_work_group_size: 1
    .uses_dynamic_stack: false
    .vgpr_count:     251
    .vgpr_spill_count: 0
    .wavefront_size: 32
    .workgroup_processor_mode: 1
amdhsa.target:   amdgcn-amd-amdhsa--gfx1030
amdhsa.version:
  - 1
  - 2
...

	.end_amdgpu_metadata
